;; amdgpu-corpus repo=ROCm/rccl kind=compiled arch=gfx906 opt=O3
	.amdgcn_target "amdgcn-amd-amdhsa--gfx906"
	.amdhsa_code_object_version 6
	.text
	.p2align	2                               ; -- Begin function _ZN12_GLOBAL__N_17runRingI14__hip_fp8_e4m310FuncMinMaxIS1_E7ProtoLLLi0ELi1ELi0EEEviiP15ncclDevWorkColl
	.type	_ZN12_GLOBAL__N_17runRingI14__hip_fp8_e4m310FuncMinMaxIS1_E7ProtoLLLi0ELi1ELi0EEEviiP15ncclDevWorkColl,@function
_ZN12_GLOBAL__N_17runRingI14__hip_fp8_e4m310FuncMinMaxIS1_E7ProtoLLLi0ELi1ELi0EEEviiP15ncclDevWorkColl: ; @_ZN12_GLOBAL__N_17runRingI14__hip_fp8_e4m310FuncMinMaxIS1_E7ProtoLLLi0ELi1ELi0EEEviiP15ncclDevWorkColl
; %bb.0:
	s_waitcnt vmcnt(0) expcnt(0) lgkmcnt(0)
	s_or_saveexec_b64 s[4:5], -1
	buffer_store_dword v63, off, s[0:3], s32 offset:232 ; 4-byte Folded Spill
	s_mov_b64 exec, s[4:5]
	buffer_store_dword v40, off, s[0:3], s32 offset:56 ; 4-byte Folded Spill
	buffer_store_dword v41, off, s[0:3], s32 offset:52 ; 4-byte Folded Spill
	;; [unrolled: 1-line block ×14, first 2 shown]
	buffer_store_dword v62, off, s[0:3], s32 ; 4-byte Folded Spill
	v_writelane_b32 v63, s34, 0
	v_writelane_b32 v63, s35, 1
	;; [unrolled: 1-line block ×11, first 2 shown]
	s_trap 2
	flat_load_dword v7, v[2:3]
	flat_load_dwordx4 v[25:28], v[2:3] offset:72
	flat_load_dwordx2 v[17:18], v[2:3] offset:88
	v_mov_b32_e32 v4, v0
	ds_read_b32 v5, v0
	s_waitcnt lgkmcnt(0)
	v_readfirstlane_b32 s22, v5
	s_waitcnt vmcnt(0)
	v_not_b32_sdwa v6, v7 dst_sel:DWORD dst_unused:UNUSED_PAD src0_sel:BYTE_0
	v_add_u32_sdwa v0, v7, v6 dst_sel:DWORD dst_unused:UNUSED_PAD src0_sel:BYTE_1 src1_sel:DWORD
	v_ashrrev_i32_e32 v8, 31, v0
	v_mul_lo_u32 v9, v28, v0
	v_mad_u64_u32 v[19:20], s[4:5], v27, v0, 0
	v_mul_lo_u32 v0, v27, v8
	v_cmp_ne_u32_sdwa s[4:5], v5, v7 src0_sel:DWORD src1_sel:BYTE_0
	ds_read_b64 v[23:24], v0
	v_add3_u32 v0, v20, v0, v9
                                        ; implicit-def: $vgpr20_vgpr21
                                        ; implicit-def: $vgpr8_vgpr9
                                        ; kill: killed $vgpr8_vgpr9
	s_and_saveexec_b64 s[6:7], s[4:5]
	s_xor_b64 s[4:5], exec, s[6:7]
	s_cbranch_execz .LBB0_6
; %bb.1:
	v_cmp_ne_u32_sdwa s[6:7], v5, v7 src0_sel:DWORD src1_sel:BYTE_1
                                        ; implicit-def: $vgpr20_vgpr21
                                        ; implicit-def: $vgpr7_vgpr8
                                        ; kill: killed $vgpr7_vgpr8
	s_and_saveexec_b64 s[10:11], s[6:7]
	s_xor_b64 s[6:7], exec, s[10:11]
	s_cbranch_execz .LBB0_3
; %bb.2:
	flat_load_dwordx2 v[7:8], v[2:3] offset:96
	v_add_u32_e32 v5, v5, v6
	v_ashrrev_i32_e32 v6, 31, v5
	v_mul_lo_u32 v6, v27, v6
	v_mul_lo_u32 v9, v28, v5
	v_mad_u64_u32 v[10:11], s[10:11], v27, v5, v[25:26]
	v_add3_u32 v11, v9, v11, v6
	buffer_store_dword v10, off, s[0:3], s32 offset:128 ; 4-byte Folded Spill
	s_nop 0
	buffer_store_dword v11, off, s[0:3], s32 offset:132 ; 4-byte Folded Spill
	s_waitcnt vmcnt(0) lgkmcnt(0)
	v_lshrrev_b64 v[20:21], 17, v[7:8]
.LBB0_3:
	s_andn2_saveexec_b64 s[6:7], s[6:7]
	s_cbranch_execz .LBB0_5
; %bb.4:
	flat_load_dword v5, v[2:3] offset:100
	v_add_co_u32_e32 v6, vcc, v19, v25
	v_mov_b32_e32 v28, v18
	v_addc_co_u32_e32 v7, vcc, v0, v26, vcc
	v_mov_b32_e32 v27, v17
	buffer_store_dword v6, off, s[0:3], s32 offset:128 ; 4-byte Folded Spill
	s_nop 0
	buffer_store_dword v7, off, s[0:3], s32 offset:132 ; 4-byte Folded Spill
	s_waitcnt vmcnt(0) lgkmcnt(0)
	v_lshrrev_b32_e32 v20, 6, v5
.LBB0_5:
	s_or_b64 exec, exec, s[6:7]
.LBB0_6:
	s_andn2_saveexec_b64 s[4:5], s[4:5]
	s_cbranch_execz .LBB0_8
; %bb.7:
	flat_load_dwordx2 v[5:6], v[2:3] offset:96
	v_mov_b32_e32 v28, v26
	v_mov_b32_e32 v27, v25
	s_waitcnt vmcnt(0) lgkmcnt(0)
	v_lshlrev_b64 v[20:21], 4, v[5:6]
	v_mov_b32_e32 v5, 0
	v_mov_b32_e32 v6, 0
	buffer_store_dword v5, off, s[0:3], s32 offset:128 ; 4-byte Folded Spill
	s_nop 0
	buffer_store_dword v6, off, s[0:3], s32 offset:132 ; 4-byte Folded Spill
.LBB0_8:
	s_or_b64 exec, exec, s[4:5]
	flat_load_dwordx2 v[29:30], v[2:3] offset:104
	flat_load_ushort v6, v[2:3] offset:8
	flat_load_dword v5, v[2:3] offset:4
	flat_load_dwordx4 v[7:10], v[2:3] offset:16
	s_load_dword s4, s[8:9], 0x0
	v_mov_b32_e32 v3, 0
	s_mov_b32 s6, 0
	s_waitcnt vmcnt(0) lgkmcnt(0)
	buffer_store_dword v7, off, s[0:3], s32 offset:168 ; 4-byte Folded Spill
	s_nop 0
	buffer_store_dword v8, off, s[0:3], s32 offset:172 ; 4-byte Folded Spill
	buffer_store_dword v9, off, s[0:3], s32 offset:176 ; 4-byte Folded Spill
	;; [unrolled: 1-line block ×3, first 2 shown]
	s_cmp_lt_u32 s12, s4
	s_cselect_b32 s4, 12, 18
	s_add_u32 s4, s8, s4
	s_addc_u32 s5, s9, 0
	global_load_ushort v11, v3, s[4:5]
	s_trap 2
	ds_read_b32 v2, v0
	v_lshrrev_b64 v[5:6], 31, v[5:6]
	v_mov_b32_e32 v9, 0
	v_and_b32_e32 v6, 3, v5
	v_and_b32_e32 v5, 63, v4
	s_waitcnt lgkmcnt(0)
	v_cmp_gt_i32_e32 vcc, 0, v2
	v_readfirstlane_b32 s8, v2
	v_mov_b32_e32 v10, 0
	v_cmp_eq_u32_e64 s[4:5], 0, v5
	s_cbranch_vccnz .LBB0_10
; %bb.9:
	s_trap 2
	ds_read_b64 v[7:8], v0
	v_lshlrev_b64 v[2:3], 3, v[2:3]
	s_movk_i32 s6, 0xa8
	s_waitcnt lgkmcnt(0)
	v_add_co_u32_e32 v2, vcc, v7, v2
	v_addc_co_u32_e32 v3, vcc, v8, v3, vcc
	flat_load_dwordx2 v[2:3], v[2:3]
	v_and_b32_e32 v7, 0xffff, v6
	s_waitcnt vmcnt(0) lgkmcnt(0)
	v_mad_u64_u32 v[2:3], s[6:7], v7, s6, v[2:3]
	s_mov_b32 s6, 1
	flat_load_dwordx2 v[7:8], v[2:3] offset:504
	v_add_co_u32_e32 v32, vcc, 0x1f8, v2
	v_addc_co_u32_e32 v33, vcc, 0, v3, vcc
	s_waitcnt vmcnt(0) lgkmcnt(0)
	buffer_store_dword v7, off, s[0:3], s32 offset:76 ; 4-byte Folded Spill
	s_nop 0
	buffer_store_dword v8, off, s[0:3], s32 offset:80 ; 4-byte Folded Spill
	flat_load_dwordx2 v[34:35], v[2:3] offset:608
	v_cndmask_b32_e64 v3, 0, v33, s[4:5]
	v_cndmask_b32_e64 v2, 0, v32, s[4:5]
	s_branch .LBB0_11
.LBB0_10:
	v_mov_b32_e32 v32, 0
	v_mov_b32_e32 v2, 0
	v_mov_b32_e32 v33, 0
	v_mov_b32_e32 v3, 0
                                        ; implicit-def: $vgpr34_vgpr35
                                        ; implicit-def: $vgpr7_vgpr8
                                        ; kill: killed $vgpr7_vgpr8
.LBB0_11:
	s_trap 2
	ds_read_b32 v13, v0
	s_waitcnt lgkmcnt(0)
	v_cmp_gt_i32_e32 vcc, 0, v13
	s_cbranch_vccnz .LBB0_13
; %bb.12:
	s_trap 2
	ds_read_b64 v[7:8], v0
	v_mov_b32_e32 v14, 0
	v_lshlrev_b64 v[9:10], 3, v[13:14]
	v_and_b32_e32 v6, 0xffff, v6
	s_movk_i32 s4, 0xa8
	s_waitcnt lgkmcnt(0)
	v_add_co_u32_e32 v7, vcc, v7, v9
	v_addc_co_u32_e32 v8, vcc, v8, v10, vcc
	flat_load_dwordx2 v[7:8], v[7:8]
	v_cmp_eq_u32_e32 vcc, 0, v5
	s_waitcnt vmcnt(0) lgkmcnt(0)
	v_mad_u64_u32 v[9:10], s[4:5], v6, s4, v[7:8]
	flat_load_dwordx2 v[36:37], v[9:10]
	flat_load_dwordx2 v[21:22], v[9:10] offset:104
	v_cndmask_b32_e32 v16, 0, v10, vcc
	v_cndmask_b32_e32 v15, 0, v9, vcc
	s_branch .LBB0_14
.LBB0_13:
	v_mov_b32_e32 v15, 0
	v_mov_b32_e32 v16, 0
                                        ; implicit-def: $vgpr21_vgpr22
                                        ; implicit-def: $vgpr36_vgpr37
.LBB0_14:
	v_subrev_u32_e32 v6, 64, v1
	v_cmp_ge_i32_e32 vcc, v4, v6
	v_cmp_gt_u32_e64 s[4:5], s6, v5
	v_mov_b32_e32 v13, 0
	v_mov_b32_e32 v5, 0
	;; [unrolled: 1-line block ×4, first 2 shown]
	s_and_b64 s[24:25], vcc, s[4:5]
	buffer_store_dword v5, off, s[0:3], s32 offset:68 ; 4-byte Folded Spill
	s_nop 0
	buffer_store_dword v6, off, s[0:3], s32 offset:72 ; 4-byte Folded Spill
                                        ; implicit-def: $vgpr38_vgpr39
	s_and_saveexec_b64 s[4:5], s[24:25]
	s_cbranch_execz .LBB0_16
; %bb.15:
	flat_load_dwordx2 v[5:6], v[2:3] offset:56
	s_waitcnt vmcnt(0) lgkmcnt(0)
	buffer_store_dword v5, off, s[0:3], s32 offset:68 ; 4-byte Folded Spill
	s_nop 0
	buffer_store_dword v6, off, s[0:3], s32 offset:72 ; 4-byte Folded Spill
	flat_load_dwordx2 v[38:39], v[2:3] offset:104
.LBB0_16:
	s_or_b64 exec, exec, s[4:5]
	v_mov_b32_e32 v50, 0
	v_mov_b32_e32 v51, 0
	v_cmp_gt_u32_e64 s[4:5], s6, v4
                                        ; implicit-def: $vgpr52_vgpr53
	s_and_saveexec_b64 s[6:7], s[4:5]
	s_cbranch_execz .LBB0_18
; %bb.17:
	flat_load_dwordx2 v[50:51], v[15:16] offset:56
	s_waitcnt vmcnt(0) lgkmcnt(0)
	flat_load_dwordx2 v[52:53], v[50:51] glc
	s_waitcnt vmcnt(0)
	flat_load_dwordx4 v[13:16], v[15:16] offset:96
.LBB0_18:
	s_or_b64 exec, exec, s[6:7]
	v_mov_b32_e32 v2, 0
	v_cmp_ne_u64_e32 vcc, 0, v[27:28]
	v_mov_b32_e32 v3, 0
	s_and_saveexec_b64 s[26:27], vcc
	s_cbranch_execz .LBB0_914
; %bb.19:
	v_add_co_u32_e32 v2, vcc, v17, v25
	s_ashr_i32 s6, s8, 31
	v_addc_co_u32_e32 v3, vcc, v18, v26, vcc
	s_lshr_b32 s6, s6, 29
	v_add_co_u32_e32 v2, vcc, v2, v19
	s_ashr_i32 s23, s22, 31
	s_add_i32 s8, s8, s6
	v_addc_co_u32_e32 v0, vcc, v3, v0, vcc
	s_lshl_b64 s[6:7], s[22:23], 2
	buffer_store_dword v32, off, s[0:3], s32 offset:224 ; 4-byte Folded Spill
	s_nop 0
	buffer_store_dword v33, off, s[0:3], s32 offset:228 ; 4-byte Folded Spill
	buffer_store_dword v9, off, s[0:3], s32 offset:216 ; 4-byte Folded Spill
	s_nop 0
	buffer_store_dword v10, off, s[0:3], s32 offset:220 ; 4-byte Folded Spill
	buffer_store_dword v2, off, s[0:3], s32 offset:64 ; 4-byte Folded Spill
	;; [unrolled: 1-line block ×3, first 2 shown]
	v_mov_b32_e32 v0, s7
	v_add_co_u32_e32 v2, vcc, s6, v23
	v_addc_co_u32_e32 v0, vcc, v24, v0, vcc
	v_add_co_u32_e32 v2, vcc, -4, v2
	v_addc_co_u32_e32 v3, vcc, -1, v0, vcc
	v_and_b32_e32 v0, 63, v31
	v_cmp_eq_u32_e64 s[12:13], 0, v0
	v_lshrrev_b32_e32 v0, 6, v1
	buffer_store_dword v2, off, s[0:3], s32 offset:160 ; 4-byte Folded Spill
	s_nop 0
	buffer_store_dword v3, off, s[0:3], s32 offset:164 ; 4-byte Folded Spill
	s_waitcnt vmcnt(0)
	buffer_store_dword v11, off, s[0:3], s32 offset:212 ; 4-byte Folded Spill
	buffer_store_dword v31, off, s[0:3], s32 offset:208 ; 4-byte Folded Spill
	buffer_store_dword v0, off, s[0:3], s32 offset:96 ; 4-byte Folded Spill
	buffer_load_dword v5, off, s[0:3], s32 offset:168 ; 4-byte Folded Reload
	buffer_load_dword v6, off, s[0:3], s32 offset:172 ; 4-byte Folded Reload
	buffer_load_dword v7, off, s[0:3], s32 offset:176 ; 4-byte Folded Reload
	buffer_load_dword v8, off, s[0:3], s32 offset:180 ; 4-byte Folded Reload
	v_lshlrev_b32_e32 v9, 3, v4
	v_mov_b32_e32 v41, 0
	s_ashr_i32 s10, s8, 3
	s_ashr_i32 s36, s8, 7
	s_and_b32 s23, s10, -16
	v_cmp_ne_u64_e64 s[6:7], 0, v[50:51]
	s_waitcnt lgkmcnt(0)
	v_cmp_ne_u64_e64 s[8:9], 0, v[13:14]
	s_cmp_gt_i32 s22, 2
	v_mov_b32_e32 v42, 0
	v_and_b32_e32 v48, 0x1fffff0, v20
	s_mov_b32 s29, 0
	v_mov_b32_e32 v49, v41
	s_mov_b64 s[40:41], 0
	v_cmp_ne_u32_e64 s[10:11], 64, v1
	v_cmp_ne_u32_sdwa s[42:43], v1, v11 src0_sel:DWORD src1_sel:WORD_0
	v_lshlrev_b32_e32 v12, 3, v1
	s_cselect_b64 s[44:45], -1, 0
	v_lshlrev_b32_e32 v62, 6, v1
	v_mov_b32_e32 v43, 0
	s_mov_b64 s[46:47], 0x7ffffff8
	s_movk_i32 s37, 0xff
	s_movk_i32 s38, 0x80
	;; [unrolled: 1-line block ×3, first 2 shown]
	s_mov_b64 s[56:57], 0x7f800000
	s_mov_b64 s[58:59], 0x43e00001
	s_movk_i32 s48, 0x7a
	s_mov_b64 s[60:61], 0xffffff
	s_mov_b32 s49, 0xffffff
	v_bfrev_b32_e32 v26, 60
	v_mov_b32_e32 v54, 24
	v_mov_b32_e32 v55, 0
	s_waitcnt vmcnt(1)
	v_add_co_u32_e32 v0, vcc, v7, v9
	buffer_store_dword v0, off, s[0:3], s32 offset:184 ; 4-byte Folded Spill
	s_waitcnt vmcnt(1)
	v_addc_co_u32_e32 v0, vcc, 0, v8, vcc
	buffer_store_dword v0, off, s[0:3], s32 offset:188 ; 4-byte Folded Spill
	buffer_load_dword v2, off, s[0:3], s32 offset:68 ; 4-byte Folded Reload
	buffer_load_dword v3, off, s[0:3], s32 offset:72 ; 4-byte Folded Reload
	v_and_b32_e32 v0, 1, v29
	v_cmp_eq_u32_e64 s[14:15], 1, v0
	v_add_co_u32_e32 v0, vcc, v5, v9
	buffer_store_dword v0, off, s[0:3], s32 offset:192 ; 4-byte Folded Spill
	v_addc_co_u32_e32 v0, vcc, 0, v6, vcc
	buffer_store_dword v0, off, s[0:3], s32 offset:196 ; 4-byte Folded Spill
	s_waitcnt vmcnt(2)
	v_cmp_ne_u64_e64 s[16:17], 0, v[2:3]
	buffer_load_dword v2, off, s[0:3], s32 offset:128 ; 4-byte Folded Reload
	buffer_load_dword v3, off, s[0:3], s32 offset:132 ; 4-byte Folded Reload
	s_waitcnt vmcnt(1)
	v_add_co_u32_e32 v0, vcc, v2, v7
	s_waitcnt vmcnt(0)
	v_addc_co_u32_e32 v2, vcc, v3, v8, vcc
	v_add_co_u32_e32 v5, vcc, v0, v9
	v_addc_co_u32_e32 v6, vcc, 0, v2, vcc
	buffer_store_dword v9, off, s[0:3], s32 offset:124 ; 4-byte Folded Spill
	buffer_store_dword v5, off, s[0:3], s32 offset:100 ; 4-byte Folded Spill
	s_nop 0
	buffer_store_dword v6, off, s[0:3], s32 offset:104 ; 4-byte Folded Spill
	v_mov_b32_e32 v5, v41
	v_lshlrev_b64 v[2:3], 4, v[4:5]
	v_mov_b32_e32 v9, v27
	v_add_co_u32_e32 v0, vcc, v36, v2
	v_mov_b32_e32 v2, v41
	buffer_store_dword v0, off, s[0:3], s32 offset:200 ; 4-byte Folded Spill
	v_addc_co_u32_e32 v0, vcc, v37, v3, vcc
	v_lshlrev_b64 v[5:6], 4, v[1:2]
	v_mov_b32_e32 v2, 0
	v_mov_b32_e32 v3, 0
	;; [unrolled: 1-line block ×5, first 2 shown]
	buffer_store_dword v0, off, s[0:3], s32 offset:204 ; 4-byte Folded Spill
	buffer_store_dword v7, off, s[0:3], s32 offset:136 ; 4-byte Folded Spill
	s_nop 0
	buffer_store_dword v8, off, s[0:3], s32 offset:140 ; 4-byte Folded Spill
	buffer_store_dword v9, off, s[0:3], s32 offset:144 ; 4-byte Folded Spill
	;; [unrolled: 1-line block ×4, first 2 shown]
	s_nop 0
	buffer_store_dword v49, off, s[0:3], s32 offset:156 ; 4-byte Folded Spill
	s_branch .LBB0_21
.LBB0_20:                               ;   in Loop: Header=BB0_21 Depth=1
	s_or_b64 exec, exec, s[18:19]
	buffer_load_dword v9, off, s[0:3], s32 offset:100 ; 4-byte Folded Reload
	buffer_load_dword v10, off, s[0:3], s32 offset:104 ; 4-byte Folded Reload
	v_add_co_u32_e32 v34, vcc, 1, v34
	v_addc_co_u32_e32 v35, vcc, 0, v35, vcc
	v_add_co_u32_e32 v42, vcc, v42, v48
	v_addc_co_u32_e32 v43, vcc, 0, v43, vcc
	s_waitcnt vmcnt(0)
	v_add_co_u32_e32 v9, vcc, v9, v48
	v_addc_co_u32_e32 v10, vcc, 0, v10, vcc
	v_cmp_ge_u64_e32 vcc, v[42:43], v[27:28]
	buffer_store_dword v9, off, s[0:3], s32 offset:100 ; 4-byte Folded Spill
	s_nop 0
	buffer_store_dword v10, off, s[0:3], s32 offset:104 ; 4-byte Folded Spill
	s_or_b64 s[40:41], vcc, s[40:41]
	s_andn2_b64 exec, exec, s[40:41]
	s_cbranch_execz .LBB0_913
.LBB0_21:                               ; =>This Loop Header: Depth=1
                                        ;     Child Loop BB0_26 Depth 2
                                        ;     Child Loop BB0_45 Depth 2
	;; [unrolled: 1-line block ×5, first 2 shown]
                                        ;       Child Loop BB0_75 Depth 3
                                        ;       Child Loop BB0_94 Depth 3
	;; [unrolled: 1-line block ×3, first 2 shown]
                                        ;         Child Loop BB0_116 Depth 4
                                        ;       Child Loop BB0_484 Depth 3
                                        ;       Child Loop BB0_493 Depth 3
                                        ;     Child Loop BB0_505 Depth 2
                                        ;       Child Loop BB0_513 Depth 3
                                        ;     Child Loop BB0_900 Depth 2
	buffer_load_dword v9, off, s[0:3], s32 offset:160 ; 4-byte Folded Reload
	buffer_load_dword v10, off, s[0:3], s32 offset:164 ; 4-byte Folded Reload
	s_waitcnt vmcnt(0) lgkmcnt(0)
	flat_load_dword v0, v[9:10]
	v_sub_co_u32_e32 v9, vcc, v27, v42
	v_subb_co_u32_e32 v10, vcc, v28, v43, vcc
	v_cmp_lt_u64_e32 vcc, v[48:49], v[9:10]
	v_cndmask_b32_e32 v9, v9, v48, vcc
	v_lshl_add_u32 v10, v9, 1, 14
	v_and_b32_e32 v10, 0x7fffff0, v10
	buffer_store_dword v10, off, s[0:3], s32 offset:92 ; 4-byte Folded Spill
	s_and_saveexec_b64 s[20:21], s[6:7]
	s_cbranch_execz .LBB0_37
; %bb.22:                               ;   in Loop: Header=BB0_21 Depth=1
	v_add_co_u32_e32 v17, vcc, 1, v15
	v_addc_co_u32_e32 v18, vcc, 0, v16, vcc
	v_add_co_u32_e32 v10, vcc, 8, v52
	v_addc_co_u32_e32 v11, vcc, 0, v53, vcc
	v_cmp_lt_u64_e32 vcc, v[10:11], v[17:18]
	s_and_saveexec_b64 s[62:63], vcc
	s_cbranch_execz .LBB0_34
; %bb.23:                               ;   in Loop: Header=BB0_21 Depth=1
	s_mov_b32 s28, 0
	v_cmp_eq_u32_e32 vcc, 0, v55
	s_mov_b64 s[72:73], 0
                                        ; implicit-def: $sgpr74_sgpr75
                                        ; implicit-def: $sgpr76_sgpr77
                                        ; implicit-def: $sgpr78_sgpr79
	s_branch .LBB0_26
.LBB0_24:                               ;   in Loop: Header=BB0_26 Depth=2
	s_or_b64 exec, exec, s[30:31]
	s_andn2_b64 s[18:19], s[78:79], exec
	s_and_b64 s[78:79], s[92:93], exec
	s_or_b64 s[78:79], s[18:19], s[78:79]
	s_andn2_b64 s[18:19], s[76:77], exec
	s_and_b64 s[76:77], s[90:91], exec
	s_or_b64 s[76:77], s[18:19], s[76:77]
.LBB0_25:                               ;   in Loop: Header=BB0_26 Depth=2
	s_or_b64 exec, exec, s[88:89]
	s_and_b64 s[18:19], exec, s[76:77]
	s_or_b64 s[72:73], s[18:19], s[72:73]
	s_andn2_b64 s[18:19], s[74:75], exec
	s_and_b64 s[74:75], s[78:79], exec
	s_or_b64 s[74:75], s[18:19], s[74:75]
	s_andn2_b64 exec, exec, s[72:73]
	s_cbranch_execz .LBB0_31
.LBB0_26:                               ;   Parent Loop BB0_21 Depth=1
                                        ; =>  This Inner Loop Header: Depth=2
	s_sleep 1
	s_waitcnt vmcnt(0) lgkmcnt(0)
	flat_load_dwordx2 v[52:53], v[50:51] glc
	v_mov_b32_e32 v55, 1
	s_or_b64 s[78:79], s[78:79], exec
	s_or_b64 s[76:77], s[76:77], exec
                                        ; implicit-def: $vgpr10
	s_and_saveexec_b64 s[88:89], vcc
	s_cbranch_execz .LBB0_25
; %bb.27:                               ;   in Loop: Header=BB0_26 Depth=2
	s_add_i32 s28, s28, 1
	s_cmpk_lg_i32 s28, 0x2710
	s_cselect_b64 s[94:95], -1, 0
	s_cmpk_eq_i32 s28, 0x2710
	s_mov_b64 s[90:91], -1
	s_mov_b64 s[92:93], -1
                                        ; implicit-def: $vgpr10
	s_cbranch_scc1 .LBB0_29
; %bb.28:                               ;   in Loop: Header=BB0_26 Depth=2
	v_mov_b32_e32 v55, 1
	s_and_saveexec_b64 s[30:31], s[94:95]
	s_cbranch_execz .LBB0_24
	s_branch .LBB0_30
.LBB0_29:                               ;   in Loop: Header=BB0_26 Depth=2
	s_trap 2
	s_waitcnt vmcnt(0) lgkmcnt(0)
	ds_read_b64 v[10:11], v0
	s_andn2_b64 s[94:95], s[94:95], exec
	s_mov_b32 s28, 0
	s_mov_b64 s[92:93], 0
	s_waitcnt lgkmcnt(0)
	flat_load_dword v10, v[10:11] glc
	s_waitcnt vmcnt(0) lgkmcnt(0)
	buffer_wbinvl1_vol
	v_cmp_eq_u32_e64 s[18:19], 0, v10
	s_and_b64 s[18:19], s[18:19], exec
	s_or_b64 s[94:95], s[94:95], s[18:19]
	v_mov_b32_e32 v55, 1
	s_and_saveexec_b64 s[30:31], s[94:95]
	s_cbranch_execz .LBB0_24
.LBB0_30:                               ;   in Loop: Header=BB0_26 Depth=2
	s_waitcnt vmcnt(0) lgkmcnt(0)
	v_add_co_u32_e64 v19, s[18:19], 8, v52
	v_addc_co_u32_e64 v20, s[18:19], 0, v53, s[18:19]
	v_cmp_ge_u64_e64 s[18:19], v[19:20], v[17:18]
	v_mov_b32_e32 v55, 0
	s_or_b64 s[92:93], s[92:93], exec
	s_orn2_b64 s[90:91], s[18:19], exec
	s_branch .LBB0_24
.LBB0_31:                               ;   in Loop: Header=BB0_21 Depth=1
	s_or_b64 exec, exec, s[72:73]
	s_xor_b64 s[18:19], s[74:75], -1
	s_and_saveexec_b64 s[72:73], s[18:19]
	s_xor_b64 s[18:19], exec, s[72:73]
	s_cbranch_execz .LBB0_33
; %bb.32:                               ;   in Loop: Header=BB0_21 Depth=1
	v_mov_b32_e32 v55, 1
	s_waitcnt vmcnt(0) lgkmcnt(0)
	ds_write_b32 v0, v10
	s_trap 2
.LBB0_33:                               ;   in Loop: Header=BB0_21 Depth=1
	s_or_b64 exec, exec, s[18:19]
.LBB0_34:                               ;   in Loop: Header=BB0_21 Depth=1
	s_or_b64 exec, exec, s[62:63]
	s_and_saveexec_b64 s[18:19], s[8:9]
	s_cbranch_execz .LBB0_36
; %bb.35:                               ;   in Loop: Header=BB0_21 Depth=1
	buffer_load_dword v16, off, s[0:3], s32 offset:92 ; 4-byte Folded Reload
	v_and_b32_e32 v40, 0x7ffffff8, v15
	v_and_b32_e32 v10, 7, v15
	v_mad_u64_u32 v[10:11], s[62:63], v10, 24, v[13:14]
	v_cmp_eq_u64_e32 vcc, s[46:47], v[40:41]
	v_mov_b32_e32 v15, s23
	s_waitcnt vmcnt(0)
	v_cndmask_b32_e32 v15, v16, v15, vcc
	v_ashrrev_i32_e32 v16, 31, v15
	flat_store_dwordx2 v[10:11], v[15:16] offset:8
	s_waitcnt vmcnt(0)
.LBB0_36:                               ;   in Loop: Header=BB0_21 Depth=1
	s_or_b64 exec, exec, s[18:19]
	v_mov_b32_e32 v15, v17
	v_mov_b32_e32 v16, v18
.LBB0_37:                               ;   in Loop: Header=BB0_21 Depth=1
	s_or_b64 exec, exec, s[20:21]
	s_and_saveexec_b64 s[18:19], s[10:11]
	s_cbranch_execz .LBB0_56
; %bb.38:                               ;   in Loop: Header=BB0_21 Depth=1
	s_and_saveexec_b64 s[20:21], s[42:43]
	s_xor_b64 s[20:21], exec, s[20:21]
	s_cbranch_execz .LBB0_53
; %bb.39:                               ;   in Loop: Header=BB0_21 Depth=1
	s_and_saveexec_b64 s[62:63], s[12:13]
	s_cbranch_execz .LBB0_52
; %bb.40:                               ;   in Loop: Header=BB0_21 Depth=1
	s_mov_b64 s[74:75], exec
	v_mbcnt_lo_u32_b32 v10, s74, 0
	v_mbcnt_hi_u32_b32 v10, s75, v10
	v_cmp_eq_u32_e32 vcc, 0, v10
	s_waitcnt vmcnt(0) lgkmcnt(0)
	buffer_wbinvl1_vol
	s_and_saveexec_b64 s[72:73], vcc
	s_cbranch_execz .LBB0_42
; %bb.41:                               ;   in Loop: Header=BB0_21 Depth=1
	s_bcnt1_i32_b64 s28, s[74:75]
	v_mov_b32_e32 v40, s28
	ds_add_u64 v0, v[40:41]
	s_trap 2
.LBB0_42:                               ;   in Loop: Header=BB0_21 Depth=1
	s_or_b64 exec, exec, s[72:73]
	s_trap 2
	ds_read_b64 v[10:11], v0
	s_waitcnt lgkmcnt(0)
	buffer_load_dword v17, off, s[0:3], s32 offset:96 ; 4-byte Folded Reload
	s_waitcnt vmcnt(0)
	v_add_co_u32_e32 v2, vcc, v2, v17
	v_addc_co_u32_e32 v3, vcc, 0, v3, vcc
	v_cmp_lt_u64_e32 vcc, v[10:11], v[2:3]
	s_and_saveexec_b64 s[72:73], vcc
	s_cbranch_execz .LBB0_51
; %bb.43:                               ;   in Loop: Header=BB0_21 Depth=1
	s_mov_b32 s28, 0
	s_mov_b64 s[74:75], 0
                                        ; implicit-def: $sgpr76_sgpr77
                                        ; implicit-def: $sgpr78_sgpr79
	s_branch .LBB0_45
.LBB0_44:                               ;   in Loop: Header=BB0_45 Depth=2
	s_or_b64 exec, exec, s[90:91]
	s_and_b64 s[88:89], exec, s[92:93]
	s_or_b64 s[74:75], s[88:89], s[74:75]
	s_andn2_b64 s[76:77], s[76:77], exec
	s_and_b64 s[88:89], s[78:79], exec
	s_or_b64 s[76:77], s[76:77], s[88:89]
	s_andn2_b64 exec, exec, s[74:75]
	s_cbranch_execz .LBB0_49
.LBB0_45:                               ;   Parent Loop BB0_21 Depth=1
                                        ; =>  This Inner Loop Header: Depth=2
	s_add_i32 s28, s28, 1
	s_cmpk_lg_i32 s28, 0x2710
	s_cselect_b64 s[88:89], -1, 0
	s_and_b64 vcc, exec, s[88:89]
	s_cbranch_vccz .LBB0_47
; %bb.46:                               ;   in Loop: Header=BB0_45 Depth=2
	s_mov_b64 s[92:93], -1
	s_or_b64 s[78:79], s[78:79], exec
	s_and_saveexec_b64 s[90:91], s[88:89]
	s_cbranch_execz .LBB0_44
	s_branch .LBB0_48
.LBB0_47:                               ;   in Loop: Header=BB0_45 Depth=2
	s_trap 2
	ds_read_b64 v[10:11], v0
	s_andn2_b64 s[88:89], s[88:89], exec
	s_mov_b32 s28, 0
	s_waitcnt lgkmcnt(0)
	flat_load_dword v10, v[10:11] glc
	s_waitcnt vmcnt(0) lgkmcnt(0)
	buffer_wbinvl1_vol
	v_cmp_eq_u32_e32 vcc, 0, v10
	s_and_b64 s[90:91], vcc, exec
	s_or_b64 s[88:89], s[88:89], s[90:91]
	s_mov_b64 s[92:93], -1
	s_or_b64 s[78:79], s[78:79], exec
	s_and_saveexec_b64 s[90:91], s[88:89]
	s_cbranch_execz .LBB0_44
.LBB0_48:                               ;   in Loop: Header=BB0_45 Depth=2
	s_sleep 1
	s_trap 2
	ds_read_b64 v[10:11], v0
	s_waitcnt lgkmcnt(0)
	s_andn2_b64 s[78:79], s[78:79], exec
	v_cmp_ge_u64_e32 vcc, v[10:11], v[2:3]
	s_orn2_b64 s[92:93], vcc, exec
	s_branch .LBB0_44
.LBB0_49:                               ;   in Loop: Header=BB0_21 Depth=1
	s_or_b64 exec, exec, s[74:75]
	s_and_saveexec_b64 s[74:75], s[76:77]
	s_xor_b64 s[74:75], exec, s[74:75]
	s_cbranch_execz .LBB0_51
; %bb.50:                               ;   in Loop: Header=BB0_21 Depth=1
	v_mov_b32_e32 v10, 1
	ds_write_b32 v0, v10
	s_trap 2
.LBB0_51:                               ;   in Loop: Header=BB0_21 Depth=1
	s_or_b64 exec, exec, s[72:73]
	;;#ASMSTART
	s_wakeup
	;;#ASMEND
.LBB0_52:                               ;   in Loop: Header=BB0_21 Depth=1
	s_or_b64 exec, exec, s[62:63]
.LBB0_53:                               ;   in Loop: Header=BB0_21 Depth=1
	s_andn2_saveexec_b64 s[20:21], s[20:21]
	s_cbranch_execz .LBB0_55
; %bb.54:                               ;   in Loop: Header=BB0_21 Depth=1
	s_waitcnt vmcnt(0) lgkmcnt(0)
	buffer_wbinvl1_vol
	s_barrier
.LBB0_55:                               ;   in Loop: Header=BB0_21 Depth=1
	s_or_b64 exec, exec, s[20:21]
.LBB0_56:                               ;   in Loop: Header=BB0_21 Depth=1
	s_or_b64 exec, exec, s[18:19]
	buffer_load_dword v10, off, s[0:3], s32 offset:124 ; 4-byte Folded Reload
	v_add_u32_e32 v18, 1, v21
	v_mov_b32_e32 v29, v4
	s_waitcnt vmcnt(0)
	v_sub_u32_e32 v32, v9, v10
	v_cmp_lt_i32_e64 s[18:19], 0, v32
	v_and_b32_e32 v9, 7, v21
	s_and_saveexec_b64 s[20:21], s[18:19]
	s_cbranch_execz .LBB0_64
; %bb.57:                               ;   in Loop: Header=BB0_21 Depth=1
	buffer_load_dword v29, off, s[0:3], s32 offset:100 ; 4-byte Folded Reload
	buffer_load_dword v30, off, s[0:3], s32 offset:104 ; 4-byte Folded Reload
	;; [unrolled: 1-line block ×4, first 2 shown]
	s_waitcnt lgkmcnt(0)
	v_ashrrev_i32_e32 v11, 31, v0
	v_mul_lo_u32 v10, v9, s36
	s_waitcnt vmcnt(1)
	v_mad_u64_u32 v[27:28], s[62:63], v20, v0, v[29:30]
	s_waitcnt vmcnt(0)
	v_mul_lo_u32 v17, v17, v0
	v_mul_lo_u32 v19, v20, v11
	v_ashrrev_i32_e32 v11, 31, v10
	v_lshlrev_b64 v[10:11], 4, v[10:11]
	v_mul_lo_u32 v0, v20, v0
	v_add3_u32 v28, v17, v28, v19
	buffer_load_dword v17, off, s[0:3], s32 offset:200 ; 4-byte Folded Reload
	s_mov_b64 s[62:63], 0
	v_add_lshl_u32 v0, v29, v0, 3
	v_mov_b32_e32 v29, v4
	s_waitcnt vmcnt(0)
	v_add_co_u32_e32 v46, vcc, v17, v10
	buffer_load_dword v10, off, s[0:3], s32 offset:204 ; 4-byte Folded Reload
	s_waitcnt vmcnt(0)
	v_addc_co_u32_e32 v47, vcc, v10, v11, vcc
	v_mov_b32_e32 v10, v32
	s_branch .LBB0_59
.LBB0_58:                               ;   in Loop: Header=BB0_59 Depth=2
	s_or_b64 exec, exec, s[72:73]
	v_add_co_u32_e32 v27, vcc, v27, v12
	v_sub_u32_e32 v10, v10, v12
	v_addc_co_u32_e32 v28, vcc, 0, v28, vcc
	s_waitcnt vmcnt(0)
	v_alignbit_b32 v17, v30, v11, v0
	v_alignbit_b32 v19, v25, v30, v0
	v_mov_b32_e32 v20, v18
	v_cmp_gt_i32_e32 vcc, 1, v10
	global_store_dwordx4 v[46:47], v[17:20], off
	s_or_b64 s[62:63], vcc, s[62:63]
	v_add_co_u32_e32 v46, vcc, v46, v5
	v_add_u32_e32 v29, v29, v1
	v_add_u32_e32 v0, v0, v62
	v_addc_co_u32_e32 v47, vcc, v47, v6, vcc
	s_andn2_b64 exec, exec, s[62:63]
	s_cbranch_execz .LBB0_63
.LBB0_59:                               ;   Parent Loop BB0_21 Depth=1
                                        ; =>  This Inner Loop Header: Depth=2
	v_and_b32_e32 v19, -4, v27
	v_mov_b32_e32 v20, v28
	global_load_dword v11, v[19:20], off glc slc
	v_min_u32_e32 v17, 8, v10
	v_and_b32_e32 v25, 3, v27
	v_add_u32_e32 v40, v25, v17
	v_cmp_lt_u32_e32 vcc, 4, v40
	v_mov_b32_e32 v25, 0
	v_mov_b32_e32 v30, 0
	s_and_saveexec_b64 s[72:73], vcc
	s_cbranch_execz .LBB0_61
; %bb.60:                               ;   in Loop: Header=BB0_59 Depth=2
	global_load_dword v30, v[19:20], off offset:4 glc slc
.LBB0_61:                               ;   in Loop: Header=BB0_59 Depth=2
	s_or_b64 exec, exec, s[72:73]
	v_cmp_lt_u64_e32 vcc, 8, v[40:41]
	s_and_saveexec_b64 s[72:73], vcc
	s_cbranch_execz .LBB0_58
; %bb.62:                               ;   in Loop: Header=BB0_59 Depth=2
	global_load_dword v25, v[19:20], off offset:8 glc slc
	s_branch .LBB0_58
.LBB0_63:                               ;   in Loop: Header=BB0_21 Depth=1
	s_or_b64 exec, exec, s[62:63]
.LBB0_64:                               ;   in Loop: Header=BB0_21 Depth=1
	s_or_b64 exec, exec, s[20:21]
	v_and_b32_e32 v40, 0x7ffffff8, v21
	v_cmp_eq_u64_e32 vcc, s[46:47], v[40:41]
	v_cmp_gt_i32_e64 s[20:21], s36, v29
	s_and_b64 s[20:21], vcc, s[20:21]
	s_and_saveexec_b64 s[62:63], s[20:21]
	s_cbranch_execz .LBB0_67
; %bb.65:                               ;   in Loop: Header=BB0_21 Depth=1
	v_mul_lo_u32 v9, v9, s36
	v_ashrrev_i32_e32 v30, 31, v29
	v_lshlrev_b64 v[19:20], 4, v[29:30]
	v_mov_b32_e32 v17, v41
	v_ashrrev_i32_e32 v10, 31, v9
	v_lshlrev_b64 v[9:10], 4, v[9:10]
	s_mov_b64 s[72:73], 0
	s_waitcnt lgkmcnt(0)
	v_add_co_u32_e32 v0, vcc, v19, v9
	v_addc_co_u32_e32 v9, vcc, v20, v10, vcc
	v_add_co_u32_e32 v27, vcc, v36, v0
	v_addc_co_u32_e32 v28, vcc, v37, v9, vcc
.LBB0_66:                               ;   Parent Loop BB0_21 Depth=1
                                        ; =>  This Inner Loop Header: Depth=2
	v_mov_b32_e32 v19, v17
	v_mov_b32_e32 v20, v18
	v_add_u32_e32 v29, v29, v1
	global_store_dwordx4 v[27:28], v[17:20], off
	v_add_co_u32_e32 v27, vcc, v27, v5
	v_cmp_le_i32_e64 s[20:21], s36, v29
	s_or_b64 s[72:73], s[20:21], s[72:73]
	v_addc_co_u32_e32 v28, vcc, v28, v6, vcc
	s_andn2_b64 exec, exec, s[72:73]
	s_cbranch_execnz .LBB0_66
.LBB0_67:                               ;   in Loop: Header=BB0_21 Depth=1
	s_or_b64 exec, exec, s[62:63]
	buffer_load_dword v9, off, s[0:3], s32 offset:128 ; 4-byte Folded Reload
	buffer_load_dword v10, off, s[0:3], s32 offset:132 ; 4-byte Folded Reload
	v_add_co_u32_e64 v46, s[20:21], 1, v21
	v_addc_co_u32_e64 v47, s[20:21], 0, v22, s[20:21]
	s_waitcnt vmcnt(0)
	v_add_co_u32_e32 v9, vcc, v42, v9
	buffer_store_dword v42, off, s[0:3], s32 offset:108 ; 4-byte Folded Spill
	s_nop 0
	buffer_store_dword v43, off, s[0:3], s32 offset:112 ; 4-byte Folded Spill
	v_addc_co_u32_e32 v10, vcc, v43, v10, vcc
	s_andn2_b64 vcc, exec, s[44:45]
	buffer_store_dword v9, off, s[0:3], s32 offset:116 ; 4-byte Folded Spill
	buffer_store_dword v10, off, s[0:3], s32 offset:120 ; 4-byte Folded Spill
	s_cbranch_vccnz .LBB0_502
; %bb.68:                               ;   in Loop: Header=BB0_21 Depth=1
	s_waitcnt lgkmcnt(0)
	buffer_load_dword v0, off, s[0:3], s32 offset:184 ; 4-byte Folded Reload
	v_add_u16_e32 v49, 1, v21
	s_mov_b32 s50, 2
	s_waitcnt vmcnt(0)
	v_add_co_u32_e32 v9, vcc, v0, v9
	buffer_load_dword v0, off, s[0:3], s32 offset:188 ; 4-byte Folded Reload
	s_waitcnt vmcnt(0)
	v_addc_co_u32_e32 v10, vcc, v0, v10, vcc
	buffer_store_dword v9, off, s[0:3], s32 offset:84 ; 4-byte Folded Spill
	s_nop 0
	buffer_store_dword v10, off, s[0:3], s32 offset:88 ; 4-byte Folded Spill
	s_branch .LBB0_70
.LBB0_69:                               ;   in Loop: Header=BB0_70 Depth=2
	s_or_b64 exec, exec, s[62:63]
	v_add_co_u32_e32 v34, vcc, 1, v34
	v_addc_co_u32_e32 v35, vcc, 0, v35, vcc
	s_add_i32 s50, s50, 1
	v_add_co_u32_e32 v46, vcc, 1, v46
	v_addc_co_u32_e32 v47, vcc, 0, v47, vcc
	s_cmp_eq_u32 s50, s22
	v_add_u16_e32 v49, 1, v49
	s_cbranch_scc1 .LBB0_501
.LBB0_70:                               ;   Parent Loop BB0_21 Depth=1
                                        ; =>  This Loop Header: Depth=2
                                        ;       Child Loop BB0_75 Depth 3
                                        ;       Child Loop BB0_94 Depth 3
	;; [unrolled: 1-line block ×3, first 2 shown]
                                        ;         Child Loop BB0_116 Depth 4
                                        ;       Child Loop BB0_484 Depth 3
                                        ;       Child Loop BB0_493 Depth 3
	s_sub_i32 s28, s22, s50
	s_lshl_b64 s[20:21], s[28:29], 2
	s_waitcnt vmcnt(0) lgkmcnt(0)
	v_mov_b32_e32 v0, s21
	v_add_co_u32_e32 v9, vcc, s20, v23
	v_addc_co_u32_e32 v10, vcc, v24, v0, vcc
	flat_load_dword v0, v[9:10]
	s_and_saveexec_b64 s[62:63], s[6:7]
	s_cbranch_execz .LBB0_86
; %bb.71:                               ;   in Loop: Header=BB0_70 Depth=2
	v_add_co_u32_e32 v17, vcc, 1, v15
	v_addc_co_u32_e32 v18, vcc, 0, v16, vcc
	v_add_co_u32_e32 v9, vcc, 8, v52
	v_addc_co_u32_e32 v10, vcc, 0, v53, vcc
	v_cmp_lt_u64_e32 vcc, v[9:10], v[17:18]
	s_and_saveexec_b64 s[72:73], vcc
	s_cbranch_execz .LBB0_83
; %bb.72:                               ;   in Loop: Header=BB0_70 Depth=2
	s_mov_b32 s28, 0
	v_cmp_eq_u32_e32 vcc, 0, v55
	s_mov_b64 s[74:75], 0
                                        ; implicit-def: $sgpr76_sgpr77
                                        ; implicit-def: $sgpr78_sgpr79
                                        ; implicit-def: $sgpr88_sgpr89
	s_branch .LBB0_75
.LBB0_73:                               ;   in Loop: Header=BB0_75 Depth=3
	s_or_b64 exec, exec, s[34:35]
	s_andn2_b64 s[20:21], s[88:89], exec
	s_and_b64 s[88:89], s[94:95], exec
	s_or_b64 s[88:89], s[20:21], s[88:89]
	s_andn2_b64 s[20:21], s[78:79], exec
	s_and_b64 s[78:79], s[92:93], exec
	s_or_b64 s[78:79], s[20:21], s[78:79]
.LBB0_74:                               ;   in Loop: Header=BB0_75 Depth=3
	s_or_b64 exec, exec, s[90:91]
	s_and_b64 s[20:21], exec, s[78:79]
	s_or_b64 s[74:75], s[20:21], s[74:75]
	s_andn2_b64 s[20:21], s[76:77], exec
	s_and_b64 s[76:77], s[88:89], exec
	s_or_b64 s[76:77], s[20:21], s[76:77]
	s_andn2_b64 exec, exec, s[74:75]
	s_cbranch_execz .LBB0_80
.LBB0_75:                               ;   Parent Loop BB0_21 Depth=1
                                        ;     Parent Loop BB0_70 Depth=2
                                        ; =>    This Inner Loop Header: Depth=3
	s_sleep 1
	s_waitcnt vmcnt(0) lgkmcnt(0)
	flat_load_dwordx2 v[52:53], v[50:51] glc
	v_mov_b32_e32 v55, 1
	s_or_b64 s[88:89], s[88:89], exec
	s_or_b64 s[78:79], s[78:79], exec
                                        ; implicit-def: $vgpr9
	s_and_saveexec_b64 s[90:91], vcc
	s_cbranch_execz .LBB0_74
; %bb.76:                               ;   in Loop: Header=BB0_75 Depth=3
	s_add_i32 s28, s28, 1
	s_cmpk_lg_i32 s28, 0x2710
	s_cselect_b64 s[30:31], -1, 0
	s_cmpk_eq_i32 s28, 0x2710
	s_mov_b64 s[92:93], -1
	s_mov_b64 s[94:95], -1
                                        ; implicit-def: $vgpr9
	s_cbranch_scc1 .LBB0_78
; %bb.77:                               ;   in Loop: Header=BB0_75 Depth=3
	v_mov_b32_e32 v55, 1
	s_and_saveexec_b64 s[34:35], s[30:31]
	s_cbranch_execz .LBB0_73
	s_branch .LBB0_79
.LBB0_78:                               ;   in Loop: Header=BB0_75 Depth=3
	s_trap 2
	s_waitcnt vmcnt(0) lgkmcnt(0)
	ds_read_b64 v[9:10], v0
	s_andn2_b64 s[30:31], s[30:31], exec
	s_mov_b32 s28, 0
	s_mov_b64 s[94:95], 0
	s_waitcnt lgkmcnt(0)
	flat_load_dword v9, v[9:10] glc
	s_waitcnt vmcnt(0) lgkmcnt(0)
	buffer_wbinvl1_vol
	v_cmp_eq_u32_e64 s[20:21], 0, v9
	s_and_b64 s[20:21], s[20:21], exec
	s_or_b64 s[30:31], s[30:31], s[20:21]
	v_mov_b32_e32 v55, 1
	s_and_saveexec_b64 s[34:35], s[30:31]
	s_cbranch_execz .LBB0_73
.LBB0_79:                               ;   in Loop: Header=BB0_75 Depth=3
	s_waitcnt vmcnt(0) lgkmcnt(0)
	v_add_co_u32_e64 v10, s[20:21], 8, v52
	v_addc_co_u32_e64 v11, s[20:21], 0, v53, s[20:21]
	v_cmp_ge_u64_e64 s[20:21], v[10:11], v[17:18]
	v_mov_b32_e32 v55, 0
	s_or_b64 s[94:95], s[94:95], exec
	s_orn2_b64 s[92:93], s[20:21], exec
	s_branch .LBB0_73
.LBB0_80:                               ;   in Loop: Header=BB0_70 Depth=2
	s_or_b64 exec, exec, s[74:75]
	s_xor_b64 s[20:21], s[76:77], -1
	s_and_saveexec_b64 s[74:75], s[20:21]
	s_xor_b64 s[20:21], exec, s[74:75]
	s_cbranch_execz .LBB0_82
; %bb.81:                               ;   in Loop: Header=BB0_70 Depth=2
	v_mov_b32_e32 v55, 1
	s_waitcnt vmcnt(0) lgkmcnt(0)
	ds_write_b32 v0, v9
	s_trap 2
.LBB0_82:                               ;   in Loop: Header=BB0_70 Depth=2
	s_or_b64 exec, exec, s[20:21]
.LBB0_83:                               ;   in Loop: Header=BB0_70 Depth=2
	s_or_b64 exec, exec, s[72:73]
	s_and_saveexec_b64 s[20:21], s[8:9]
	s_cbranch_execz .LBB0_85
; %bb.84:                               ;   in Loop: Header=BB0_70 Depth=2
	v_and_b32_e32 v40, 0x7ffffff8, v15
	v_and_b32_e32 v9, 7, v15
	buffer_load_dword v15, off, s[0:3], s32 offset:92 ; 4-byte Folded Reload
	v_mad_u64_u32 v[9:10], s[72:73], v9, 24, v[13:14]
	v_cmp_eq_u64_e32 vcc, s[46:47], v[40:41]
	v_mov_b32_e32 v11, s23
	s_waitcnt vmcnt(0)
	v_cndmask_b32_e32 v15, v15, v11, vcc
	v_ashrrev_i32_e32 v16, 31, v15
	flat_store_dwordx2 v[9:10], v[15:16] offset:8
	s_waitcnt vmcnt(0)
.LBB0_85:                               ;   in Loop: Header=BB0_70 Depth=2
	s_or_b64 exec, exec, s[20:21]
	v_mov_b32_e32 v15, v17
	v_mov_b32_e32 v16, v18
.LBB0_86:                               ;   in Loop: Header=BB0_70 Depth=2
	s_or_b64 exec, exec, s[62:63]
	s_and_saveexec_b64 s[20:21], s[10:11]
	s_cbranch_execz .LBB0_105
; %bb.87:                               ;   in Loop: Header=BB0_70 Depth=2
	s_and_saveexec_b64 s[62:63], s[42:43]
	s_xor_b64 s[62:63], exec, s[62:63]
	s_cbranch_execz .LBB0_102
; %bb.88:                               ;   in Loop: Header=BB0_70 Depth=2
	s_and_saveexec_b64 s[72:73], s[12:13]
	s_cbranch_execz .LBB0_101
; %bb.89:                               ;   in Loop: Header=BB0_70 Depth=2
	s_mov_b64 s[76:77], exec
	v_mbcnt_lo_u32_b32 v9, s76, 0
	v_mbcnt_hi_u32_b32 v9, s77, v9
	v_cmp_eq_u32_e32 vcc, 0, v9
	s_waitcnt vmcnt(0) lgkmcnt(0)
	buffer_wbinvl1_vol
	s_and_saveexec_b64 s[74:75], vcc
	s_cbranch_execz .LBB0_91
; %bb.90:                               ;   in Loop: Header=BB0_70 Depth=2
	s_bcnt1_i32_b64 s28, s[76:77]
	v_mov_b32_e32 v40, s28
	ds_add_u64 v0, v[40:41]
	s_trap 2
.LBB0_91:                               ;   in Loop: Header=BB0_70 Depth=2
	s_or_b64 exec, exec, s[74:75]
	s_trap 2
	ds_read_b64 v[9:10], v0
	s_waitcnt lgkmcnt(0)
	buffer_load_dword v11, off, s[0:3], s32 offset:96 ; 4-byte Folded Reload
	s_waitcnt vmcnt(0)
	v_add_co_u32_e32 v2, vcc, v2, v11
	v_addc_co_u32_e32 v3, vcc, 0, v3, vcc
	v_cmp_lt_u64_e32 vcc, v[9:10], v[2:3]
	s_and_saveexec_b64 s[74:75], vcc
	s_cbranch_execz .LBB0_100
; %bb.92:                               ;   in Loop: Header=BB0_70 Depth=2
	s_mov_b32 s28, 0
	s_mov_b64 s[76:77], 0
                                        ; implicit-def: $sgpr78_sgpr79
                                        ; implicit-def: $sgpr88_sgpr89
	s_branch .LBB0_94
.LBB0_93:                               ;   in Loop: Header=BB0_94 Depth=3
	s_or_b64 exec, exec, s[92:93]
	s_and_b64 s[90:91], exec, s[94:95]
	s_or_b64 s[76:77], s[90:91], s[76:77]
	s_andn2_b64 s[78:79], s[78:79], exec
	s_and_b64 s[90:91], s[88:89], exec
	s_or_b64 s[78:79], s[78:79], s[90:91]
	s_andn2_b64 exec, exec, s[76:77]
	s_cbranch_execz .LBB0_98
.LBB0_94:                               ;   Parent Loop BB0_21 Depth=1
                                        ;     Parent Loop BB0_70 Depth=2
                                        ; =>    This Inner Loop Header: Depth=3
	s_add_i32 s28, s28, 1
	s_cmpk_lg_i32 s28, 0x2710
	s_cselect_b64 s[90:91], -1, 0
	s_and_b64 vcc, exec, s[90:91]
	s_cbranch_vccz .LBB0_96
; %bb.95:                               ;   in Loop: Header=BB0_94 Depth=3
	s_mov_b64 s[94:95], -1
	s_or_b64 s[88:89], s[88:89], exec
	s_and_saveexec_b64 s[92:93], s[90:91]
	s_cbranch_execz .LBB0_93
	s_branch .LBB0_97
.LBB0_96:                               ;   in Loop: Header=BB0_94 Depth=3
	s_trap 2
	ds_read_b64 v[9:10], v0
	s_andn2_b64 s[90:91], s[90:91], exec
	s_mov_b32 s28, 0
	s_waitcnt lgkmcnt(0)
	flat_load_dword v9, v[9:10] glc
	s_waitcnt vmcnt(0) lgkmcnt(0)
	buffer_wbinvl1_vol
	v_cmp_eq_u32_e32 vcc, 0, v9
	s_and_b64 s[92:93], vcc, exec
	s_or_b64 s[90:91], s[90:91], s[92:93]
	s_mov_b64 s[94:95], -1
	s_or_b64 s[88:89], s[88:89], exec
	s_and_saveexec_b64 s[92:93], s[90:91]
	s_cbranch_execz .LBB0_93
.LBB0_97:                               ;   in Loop: Header=BB0_94 Depth=3
	s_sleep 1
	s_trap 2
	ds_read_b64 v[9:10], v0
	s_waitcnt lgkmcnt(0)
	s_andn2_b64 s[88:89], s[88:89], exec
	v_cmp_ge_u64_e32 vcc, v[9:10], v[2:3]
	s_orn2_b64 s[94:95], vcc, exec
	s_branch .LBB0_93
.LBB0_98:                               ;   in Loop: Header=BB0_70 Depth=2
	s_or_b64 exec, exec, s[76:77]
	s_and_saveexec_b64 s[76:77], s[78:79]
	s_xor_b64 s[76:77], exec, s[76:77]
	s_cbranch_execz .LBB0_100
; %bb.99:                               ;   in Loop: Header=BB0_70 Depth=2
	v_mov_b32_e32 v9, 1
	ds_write_b32 v0, v9
	s_trap 2
.LBB0_100:                              ;   in Loop: Header=BB0_70 Depth=2
	s_or_b64 exec, exec, s[74:75]
	;;#ASMSTART
	s_wakeup
	;;#ASMEND
.LBB0_101:                              ;   in Loop: Header=BB0_70 Depth=2
	s_or_b64 exec, exec, s[72:73]
.LBB0_102:                              ;   in Loop: Header=BB0_70 Depth=2
	s_andn2_saveexec_b64 s[62:63], s[62:63]
	s_cbranch_execz .LBB0_104
; %bb.103:                              ;   in Loop: Header=BB0_70 Depth=2
	s_waitcnt vmcnt(0) lgkmcnt(0)
	buffer_wbinvl1_vol
	s_barrier
.LBB0_104:                              ;   in Loop: Header=BB0_70 Depth=2
	s_or_b64 exec, exec, s[62:63]
.LBB0_105:                              ;   in Loop: Header=BB0_70 Depth=2
	s_or_b64 exec, exec, s[20:21]
	v_add_u32_e32 v18, 1, v46
	v_mov_b32_e32 v58, v4
	s_and_saveexec_b64 s[62:63], s[18:19]
	s_cbranch_execz .LBB0_476
; %bb.106:                              ;   in Loop: Header=BB0_70 Depth=2
	buffer_load_dword v11, off, s[0:3], s32 offset:64 ; 4-byte Folded Reload
	buffer_load_dword v19, off, s[0:3], s32 offset:84 ; 4-byte Folded Reload
	buffer_load_dword v20, off, s[0:3], s32 offset:88 ; 4-byte Folded Reload
	buffer_load_dword v10, off, s[0:3], s32 offset:60 ; 4-byte Folded Reload
	s_waitcnt vmcnt(0) lgkmcnt(0)
	v_ashrrev_i32_e32 v9, 31, v0
	s_mov_b64 s[72:73], 0
	v_mov_b32_e32 v58, v4
	v_mad_u64_u32 v[60:61], s[20:21], v11, v0, v[19:20]
	buffer_load_dword v20, off, s[0:3], s32 offset:76 ; 4-byte Folded Reload
	buffer_load_dword v21, off, s[0:3], s32 offset:80 ; 4-byte Folded Reload
	v_mul_lo_u32 v0, v10, v0
	v_mul_lo_u32 v10, v11, v9
	v_and_b32_e32 v9, 7, v34
	v_mul_lo_u32 v9, v9, s36
	v_add3_u32 v61, v0, v61, v10
	v_and_b32_e32 v0, 7, v46
	v_mul_lo_u32 v19, v0, s36
	v_ashrrev_i32_e32 v10, 31, v9
	v_lshlrev_b64 v[9:10], 4, v[9:10]
	s_waitcnt vmcnt(1)
	v_add_co_u32_e32 v31, vcc, v20, v9
	v_ashrrev_i32_e32 v20, 31, v19
	s_waitcnt vmcnt(0)
	v_addc_co_u32_e32 v48, vcc, v21, v10, vcc
	v_lshlrev_b64 v[10:11], 4, v[19:20]
	v_add_u32_e32 v9, 1, v34
	v_add_co_u32_e32 v10, vcc, v36, v10
	v_addc_co_u32_e32 v25, vcc, v37, v11, vcc
	v_mov_b32_e32 v11, v32
	s_branch .LBB0_108
.LBB0_107:                              ;   in Loop: Header=BB0_108 Depth=3
	s_or_b64 exec, exec, s[20:21]
	v_add_co_u32_e32 v60, vcc, v60, v12
	v_addc_co_u32_e32 v61, vcc, 0, v61, vcc
	v_add_co_u32_e32 v21, vcc, v10, v29
	v_lshlrev_b32_e32 v0, 8, v59
	v_lshlrev_b32_e32 v19, 16, v42
	;; [unrolled: 1-line block ×5, first 2 shown]
	v_addc_co_u32_e32 v22, vcc, v25, v30, vcc
	v_sub_u32_e32 v11, v11, v12
	v_or3_b32 v0, v0, v33, v19
	v_lshlrev_b32_e32 v19, 24, v43
	v_or3_b32 v20, v20, v44, v17
	v_cmp_gt_i32_e32 vcc, 1, v11
	v_or3_b32 v17, v0, v19, 0
	v_or3_b32 v19, v20, v28, 0
	v_mov_b32_e32 v20, v18
	s_or_b64 s[72:73], vcc, s[72:73]
	v_add_u32_e32 v58, v58, v1
	global_store_dwordx4 v[21:22], v[17:20], off
	s_andn2_b64 exec, exec, s[72:73]
	s_cbranch_execz .LBB0_488
.LBB0_108:                              ;   Parent Loop BB0_21 Depth=1
                                        ;     Parent Loop BB0_70 Depth=2
                                        ; =>    This Loop Header: Depth=3
                                        ;         Child Loop BB0_116 Depth 4
	v_and_b32_e32 v19, -4, v60
	v_mov_b32_e32 v20, v61
	global_load_dword v0, v[19:20], off glc slc
	v_min_u32_e32 v17, 8, v11
	v_and_b32_e32 v21, 3, v60
	v_add_u32_e32 v40, v21, v17
	v_cmp_lt_u32_e32 vcc, 4, v40
	v_mov_b32_e32 v44, 0
	v_mov_b32_e32 v45, 0
	s_and_saveexec_b64 s[20:21], vcc
	s_cbranch_execz .LBB0_110
; %bb.109:                              ;   in Loop: Header=BB0_108 Depth=3
	global_load_dword v45, v[19:20], off offset:4 glc slc
.LBB0_110:                              ;   in Loop: Header=BB0_108 Depth=3
	s_or_b64 exec, exec, s[20:21]
	v_cmp_lt_u64_e32 vcc, 8, v[40:41]
	s_and_saveexec_b64 s[20:21], vcc
	s_cbranch_execz .LBB0_112
; %bb.111:                              ;   in Loop: Header=BB0_108 Depth=3
	global_load_dword v44, v[19:20], off offset:8 glc slc
.LBB0_112:                              ;   in Loop: Header=BB0_108 Depth=3
	s_or_b64 exec, exec, s[20:21]
	v_mov_b32_e32 v59, v41
	v_lshlrev_b64 v[29:30], 4, v[58:59]
	v_add_co_u32_e32 v27, vcc, v31, v29
	v_addc_co_u32_e32 v28, vcc, v48, v30, vcc
	global_load_dwordx4 v[19:22], v[27:28], off glc slc
	v_cmp_eq_u32_e32 vcc, 0, v55
	v_mov_b32_e32 v55, 1
	s_and_saveexec_b64 s[74:75], vcc
	s_cbranch_execz .LBB0_124
; %bb.113:                              ;   in Loop: Header=BB0_108 Depth=3
	s_waitcnt vmcnt(0)
	v_cmp_ne_u32_e32 vcc, v9, v20
	v_cmp_ne_u32_e64 s[20:21], v9, v22
	s_or_b64 s[20:21], vcc, s[20:21]
	v_mov_b32_e32 v55, 0
	s_and_saveexec_b64 s[76:77], s[20:21]
	s_cbranch_execz .LBB0_123
; %bb.114:                              ;   in Loop: Header=BB0_108 Depth=3
	s_mov_b32 s28, 1
	s_mov_b64 s[88:89], 0
                                        ; implicit-def: $sgpr78_sgpr79
                                        ; implicit-def: $sgpr90_sgpr91
	s_branch .LBB0_116
.LBB0_115:                              ;   in Loop: Header=BB0_116 Depth=4
	s_or_b64 exec, exec, s[94:95]
	s_and_b64 s[20:21], exec, s[20:21]
	s_or_b64 s[88:89], s[20:21], s[88:89]
	s_andn2_b64 s[20:21], s[78:79], exec
	s_and_b64 s[78:79], s[90:91], exec
	s_or_b64 s[78:79], s[20:21], s[78:79]
	s_andn2_b64 exec, exec, s[88:89]
	s_cbranch_execz .LBB0_120
.LBB0_116:                              ;   Parent Loop BB0_21 Depth=1
                                        ;     Parent Loop BB0_70 Depth=2
                                        ;       Parent Loop BB0_108 Depth=3
                                        ; =>      This Inner Loop Header: Depth=4
	global_load_dwordx4 v[19:22], v[27:28], off glc slc
	s_add_i32 s28, s28, 1
	s_mov_b64 s[20:21], -1
	s_cmpk_lg_i32 s28, 0x2710
	s_mov_b64 s[92:93], -1
                                        ; implicit-def: $vgpr17
	s_cbranch_scc0 .LBB0_118
; %bb.117:                              ;   in Loop: Header=BB0_116 Depth=4
	s_or_b64 s[90:91], s[90:91], exec
	s_and_saveexec_b64 s[94:95], s[92:93]
	s_cbranch_execz .LBB0_115
	s_branch .LBB0_119
.LBB0_118:                              ;   in Loop: Header=BB0_116 Depth=4
	s_trap 2
	ds_read_b64 v[42:43], v0
	s_mov_b32 s28, 0
	s_waitcnt vmcnt(0) lgkmcnt(0)
	flat_load_dword v17, v[42:43] glc
	s_waitcnt vmcnt(0) lgkmcnt(0)
	buffer_wbinvl1_vol
	v_cmp_eq_u32_e32 vcc, 0, v17
	s_orn2_b64 s[92:93], vcc, exec
	s_or_b64 s[90:91], s[90:91], exec
	s_and_saveexec_b64 s[94:95], s[92:93]
	s_cbranch_execz .LBB0_115
.LBB0_119:                              ;   in Loop: Header=BB0_116 Depth=4
	s_waitcnt vmcnt(0)
	v_cmp_eq_u32_e32 vcc, v9, v20
	v_cmp_eq_u32_e64 s[20:21], v9, v22
	s_and_b64 s[20:21], vcc, s[20:21]
	s_andn2_b64 s[90:91], s[90:91], exec
	s_orn2_b64 s[20:21], s[20:21], exec
	s_branch .LBB0_115
.LBB0_120:                              ;   in Loop: Header=BB0_108 Depth=3
	s_or_b64 exec, exec, s[88:89]
	v_mov_b32_e32 v55, 0
	s_and_saveexec_b64 s[20:21], s[78:79]
	s_xor_b64 s[20:21], exec, s[20:21]
	s_cbranch_execz .LBB0_122
; %bb.121:                              ;   in Loop: Header=BB0_108 Depth=3
	v_mov_b32_e32 v55, 1
	ds_write_b32 v0, v17
	s_trap 2
.LBB0_122:                              ;   in Loop: Header=BB0_108 Depth=3
	s_or_b64 exec, exec, s[20:21]
.LBB0_123:                              ;   in Loop: Header=BB0_108 Depth=3
	s_or_b64 exec, exec, s[76:77]
.LBB0_124:                              ;   in Loop: Header=BB0_108 Depth=3
	s_or_b64 exec, exec, s[74:75]
	s_waitcnt vmcnt(0)
	v_lshlrev_b32_e32 v22, 3, v60
	v_alignbit_b32 v40, v45, v0, v22
	v_cmp_ne_u16_sdwa s[20:21], v19, v41 src0_sel:BYTE_0 src1_sel:DWORD
                                        ; implicit-def: $vgpr17
	s_and_saveexec_b64 s[74:75], s[14:15]
	s_xor_b64 s[74:75], exec, s[74:75]
	s_cbranch_execz .LBB0_138
; %bb.125:                              ;   in Loop: Header=BB0_108 Depth=3
	v_mov_b32_e32 v17, 0
	v_mov_b32_e32 v0, 0
	s_and_saveexec_b64 s[76:77], s[20:21]
	s_cbranch_execz .LBB0_131
; %bb.126:                              ;   in Loop: Header=BB0_108 Depth=3
	v_cmp_ne_u16_sdwa s[88:89], v19, s38 src0_sel:BYTE_0 src1_sel:DWORD
	v_bfrev_b32_e32 v0, 1
	s_and_saveexec_b64 s[78:79], s[88:89]
	s_cbranch_execz .LBB0_130
; %bb.127:                              ;   in Loop: Header=BB0_108 Depth=3
	v_and_b32_e32 v27, 0x7f, v19
	v_cmp_ne_u32_e32 vcc, s39, v27
	v_mov_b32_e32 v0, 0x7f800001
	s_and_saveexec_b64 s[88:89], vcc
	s_cbranch_execz .LBB0_129
; %bb.128:                              ;   in Loop: Header=BB0_108 Depth=3
	v_and_b32_e32 v0, 7, v19
	v_ffbh_u32_e32 v0, v0
	v_min_u32_e32 v0, 32, v0
	v_lshrrev_b32_e32 v28, 3, v27
	v_cmp_gt_u32_e32 vcc, 8, v27
	v_subrev_u32_e32 v27, 28, v0
	v_sub_u32_e32 v0, 29, v0
	v_cndmask_b32_e32 v27, 0, v27, vcc
	v_cndmask_b32_e32 v0, v28, v0, vcc
	v_lshlrev_b64 v[27:28], v27, v[19:20]
	v_lshlrev_b32_e32 v28, 24, v19
	v_lshlrev_b32_e32 v27, 20, v27
	v_and_b32_e32 v27, 0x700000, v27
	v_and_b32_e32 v28, 0x80000000, v28
	v_lshl_add_u32 v0, v0, 23, v26
	v_or3_b32 v0, v28, v0, v27
.LBB0_129:                              ;   in Loop: Header=BB0_108 Depth=3
	s_or_b64 exec, exec, s[88:89]
.LBB0_130:                              ;   in Loop: Header=BB0_108 Depth=3
	s_or_b64 exec, exec, s[78:79]
.LBB0_131:                              ;   in Loop: Header=BB0_108 Depth=3
	s_or_b64 exec, exec, s[76:77]
	v_cmp_ne_u16_sdwa s[78:79], v40, v41 src0_sel:BYTE_0 src1_sel:DWORD
	s_and_saveexec_b64 s[76:77], s[78:79]
	s_cbranch_execz .LBB0_137
; %bb.132:                              ;   in Loop: Header=BB0_108 Depth=3
	v_cmp_ne_u16_sdwa s[88:89], v40, s38 src0_sel:BYTE_0 src1_sel:DWORD
	v_bfrev_b32_e32 v17, 1
	s_and_saveexec_b64 s[78:79], s[88:89]
	s_cbranch_execz .LBB0_136
; %bb.133:                              ;   in Loop: Header=BB0_108 Depth=3
	v_and_b32_e32 v27, 0x7f, v40
	v_cmp_ne_u32_e32 vcc, s39, v27
	v_mov_b32_e32 v17, 0x7f800001
	s_and_saveexec_b64 s[88:89], vcc
	s_cbranch_execz .LBB0_135
; %bb.134:                              ;   in Loop: Header=BB0_108 Depth=3
	v_and_b32_e32 v17, 7, v40
	v_ffbh_u32_e32 v17, v17
	v_min_u32_e32 v17, 32, v17
	v_lshrrev_b32_e32 v28, 3, v27
	v_cmp_gt_u32_e32 vcc, 8, v27
	v_subrev_u32_e32 v27, 28, v17
	v_sub_u32_e32 v17, 29, v17
	v_cndmask_b32_e32 v27, 0, v27, vcc
	v_cndmask_b32_e32 v17, v28, v17, vcc
	v_lshlrev_b64 v[27:28], v27, v[40:41]
	v_lshlrev_b32_e32 v28, 24, v40
	v_lshlrev_b32_e32 v27, 20, v27
	v_and_b32_e32 v27, 0x700000, v27
	v_and_b32_e32 v28, 0x80000000, v28
	v_lshl_add_u32 v17, v17, 23, v26
	v_or3_b32 v17, v28, v17, v27
.LBB0_135:                              ;   in Loop: Header=BB0_108 Depth=3
	s_or_b64 exec, exec, s[88:89]
.LBB0_136:                              ;   in Loop: Header=BB0_108 Depth=3
	s_or_b64 exec, exec, s[78:79]
.LBB0_137:                              ;   in Loop: Header=BB0_108 Depth=3
	s_or_b64 exec, exec, s[76:77]
	v_max_f32_e32 v17, v17, v17
	v_max_f32_e32 v0, v0, v0
	;; [unrolled: 1-line block ×3, first 2 shown]
.LBB0_138:                              ;   in Loop: Header=BB0_108 Depth=3
	s_andn2_saveexec_b64 s[74:75], s[74:75]
	s_cbranch_execz .LBB0_152
; %bb.139:                              ;   in Loop: Header=BB0_108 Depth=3
	v_mov_b32_e32 v17, 0
	v_mov_b32_e32 v0, 0
	s_and_saveexec_b64 s[76:77], s[20:21]
	s_cbranch_execz .LBB0_145
; %bb.140:                              ;   in Loop: Header=BB0_108 Depth=3
	v_cmp_ne_u16_sdwa s[78:79], v19, s38 src0_sel:BYTE_0 src1_sel:DWORD
	v_bfrev_b32_e32 v0, 1
	s_and_saveexec_b64 s[20:21], s[78:79]
	s_cbranch_execz .LBB0_144
; %bb.141:                              ;   in Loop: Header=BB0_108 Depth=3
	v_and_b32_e32 v27, 0x7f, v19
	v_cmp_ne_u32_e32 vcc, s39, v27
	v_mov_b32_e32 v0, 0x7f800001
	s_and_saveexec_b64 s[78:79], vcc
	s_cbranch_execz .LBB0_143
; %bb.142:                              ;   in Loop: Header=BB0_108 Depth=3
	v_and_b32_e32 v0, 7, v19
	v_ffbh_u32_e32 v0, v0
	v_min_u32_e32 v0, 32, v0
	v_lshrrev_b32_e32 v28, 3, v27
	v_cmp_gt_u32_e32 vcc, 8, v27
	v_subrev_u32_e32 v27, 28, v0
	v_sub_u32_e32 v0, 29, v0
	v_cndmask_b32_e32 v27, 0, v27, vcc
	v_cndmask_b32_e32 v0, v28, v0, vcc
	v_lshlrev_b64 v[27:28], v27, v[19:20]
	v_lshl_add_u32 v0, v0, 23, v26
	v_lshlrev_b32_e32 v20, 20, v27
	v_lshlrev_b32_e32 v27, 24, v19
	v_and_b32_e32 v20, 0x700000, v20
	v_and_b32_e32 v27, 0x80000000, v27
	v_or3_b32 v0, v27, v0, v20
.LBB0_143:                              ;   in Loop: Header=BB0_108 Depth=3
	s_or_b64 exec, exec, s[78:79]
.LBB0_144:                              ;   in Loop: Header=BB0_108 Depth=3
	s_or_b64 exec, exec, s[20:21]
.LBB0_145:                              ;   in Loop: Header=BB0_108 Depth=3
	s_or_b64 exec, exec, s[76:77]
	v_cmp_ne_u16_sdwa s[76:77], v40, v41 src0_sel:BYTE_0 src1_sel:DWORD
	s_and_saveexec_b64 s[20:21], s[76:77]
	s_cbranch_execz .LBB0_151
; %bb.146:                              ;   in Loop: Header=BB0_108 Depth=3
	v_cmp_ne_u16_sdwa s[78:79], v40, s38 src0_sel:BYTE_0 src1_sel:DWORD
	v_bfrev_b32_e32 v17, 1
	s_and_saveexec_b64 s[76:77], s[78:79]
	s_cbranch_execz .LBB0_150
; %bb.147:                              ;   in Loop: Header=BB0_108 Depth=3
	v_and_b32_e32 v20, 0x7f, v40
	v_cmp_ne_u32_e32 vcc, s39, v20
	v_mov_b32_e32 v17, 0x7f800001
	s_and_saveexec_b64 s[78:79], vcc
	s_cbranch_execz .LBB0_149
; %bb.148:                              ;   in Loop: Header=BB0_108 Depth=3
	v_and_b32_e32 v17, 7, v40
	v_ffbh_u32_e32 v17, v17
	v_min_u32_e32 v17, 32, v17
	v_lshrrev_b32_e32 v27, 3, v20
	v_cmp_gt_u32_e32 vcc, 8, v20
	v_subrev_u32_e32 v20, 28, v17
	v_sub_u32_e32 v17, 29, v17
	v_cndmask_b32_e32 v20, 0, v20, vcc
	v_cndmask_b32_e32 v17, v27, v17, vcc
	v_lshlrev_b64 v[27:28], v20, v[40:41]
	v_lshl_add_u32 v17, v17, 23, v26
	v_lshlrev_b32_e32 v20, 20, v27
	v_lshlrev_b32_e32 v27, 24, v40
	v_and_b32_e32 v20, 0x700000, v20
	v_and_b32_e32 v27, 0x80000000, v27
	v_or3_b32 v17, v27, v17, v20
.LBB0_149:                              ;   in Loop: Header=BB0_108 Depth=3
	s_or_b64 exec, exec, s[78:79]
.LBB0_150:                              ;   in Loop: Header=BB0_108 Depth=3
	s_or_b64 exec, exec, s[76:77]
.LBB0_151:                              ;   in Loop: Header=BB0_108 Depth=3
	s_or_b64 exec, exec, s[20:21]
	v_max_f32_e32 v17, v17, v17
	v_max_f32_e32 v0, v0, v0
	v_min_f32_e32 v17, v0, v17
.LBB0_152:                              ;   in Loop: Header=BB0_108 Depth=3
	s_or_b64 exec, exec, s[74:75]
	v_and_b32_e32 v27, 0x7f800000, v17
	v_mov_b32_e32 v28, v41
	v_cmp_ne_u64_e32 vcc, s[56:57], v[27:28]
                                        ; implicit-def: $vgpr33
	s_and_saveexec_b64 s[20:21], vcc
	s_xor_b64 s[74:75], exec, s[20:21]
	s_cbranch_execz .LBB0_166
; %bb.153:                              ;   in Loop: Header=BB0_108 Depth=3
	v_and_b32_e32 v27, 0x7fffffff, v17
	v_mov_b32_e32 v28, v41
	v_cmp_gt_u64_e32 vcc, s[58:59], v[27:28]
	v_and_b32_sdwa v0, v17, s38 dst_sel:DWORD dst_unused:UNUSED_PAD src0_sel:BYTE_3 src1_sel:DWORD
                                        ; implicit-def: $vgpr33
	s_and_saveexec_b64 s[20:21], vcc
	s_xor_b64 s[76:77], exec, s[20:21]
	s_cbranch_execz .LBB0_163
; %bb.154:                              ;   in Loop: Header=BB0_108 Depth=3
	v_mov_b32_e32 v33, 0
	v_cmp_ne_u32_e32 vcc, 0, v17
	s_and_saveexec_b64 s[78:79], vcc
	s_cbranch_execz .LBB0_162
; %bb.155:                              ;   in Loop: Header=BB0_108 Depth=3
	v_and_b32_e32 v27, 0x7fffff, v17
	v_bfe_u32 v17, v17, 23, 8
	v_cmp_gt_u32_e64 s[20:21], s48, v17
	v_sub_u32_e32 v20, 0x79, v17
	v_cmp_eq_u32_e32 vcc, 0, v17
	v_cndmask_b32_e64 v20, 0, v20, s[20:21]
	v_cndmask_b32_e32 v20, v20, v7, vcc
	v_add_u32_e32 v33, 20, v20
	v_or_b32_e32 v28, 0x800000, v27
	v_lshlrev_b64 v[42:43], v33, -1
	v_cndmask_b32_e32 v27, v28, v27, vcc
	v_mov_b32_e32 v28, v41
	v_add_u32_e32 v33, 19, v20
	v_bfi_b32 v42, v42, 0, v27
	v_lshlrev_b64 v[56:57], v33, 1
	v_lshrrev_b64 v[27:28], v20, v[27:28]
	v_bfi_b32 v43, v43, 0, 0
	v_cmp_eq_u64_e64 s[20:21], v[42:43], v[56:57]
	v_mov_b32_e32 v43, v28
	v_mov_b32_e32 v42, v27
	s_and_saveexec_b64 s[88:89], s[20:21]
; %bb.156:                              ;   in Loop: Header=BB0_108 Depth=3
	v_bfe_u32 v28, v27, 20, 1
	v_add_co_u32_e64 v28, s[20:21], v27, v28
	v_add_co_u32_e64 v42, s[20:21], -1, v28
; %bb.157:                              ;   in Loop: Header=BB0_108 Depth=3
	s_or_b64 exec, exec, s[88:89]
	v_add_u32_e32 v17, 0xffffff81, v17
	v_cndmask_b32_e32 v17, v17, v8, vcc
	v_lshrrev_b32_e32 v28, 23, v27
	v_add3_u32 v33, v20, v17, v28
	v_add_u32_e32 v20, 6, v33
	v_and_b32_e32 v17, 0xfffff, v42
	v_add_u32_e32 v27, v17, v27
	v_mov_b32_e32 v28, v41
	v_cmp_ne_u32_e32 vcc, 0, v20
                                        ; implicit-def: $vgpr17
	s_and_saveexec_b64 s[20:21], vcc
	s_xor_b64 s[20:21], exec, s[20:21]
; %bb.158:                              ;   in Loop: Header=BB0_108 Depth=3
	v_cmp_lt_u64_e32 vcc, s[60:61], v[27:28]
	v_add_u32_e32 v17, 7, v33
	v_cndmask_b32_e32 v17, v20, v17, vcc
	v_cndmask_b32_e64 v20, 0, 1, vcc
	v_lshrrev_b64 v[27:28], v20, v[27:28]
; %bb.159:                              ;   in Loop: Header=BB0_108 Depth=3
	s_andn2_saveexec_b64 s[20:21], s[20:21]
; %bb.160:                              ;   in Loop: Header=BB0_108 Depth=3
	v_bfe_u32 v17, v27, 23, 1
; %bb.161:                              ;   in Loop: Header=BB0_108 Depth=3
	s_or_b64 exec, exec, s[20:21]
	v_lshrrev_b64 v[27:28], 20, v[27:28]
	v_cmp_gt_i32_e32 vcc, 16, v17
	v_cndmask_b32_e32 v28, 0, v28, vcc
	v_cndmask_b32_e32 v27, 7, v27, vcc
	v_cmp_eq_u32_e32 vcc, 0, v17
	v_min_i32_e32 v17, 15, v17
	v_cmp_eq_u64_e64 s[20:21], 0, v[27:28]
	v_lshlrev_b32_e32 v17, 3, v17
	v_and_b32_e32 v17, 0xf8, v17
	v_and_or_b32 v17, v27, 7, v17
	s_and_b64 s[20:21], vcc, s[20:21]
	v_cndmask_b32_e64 v17, v17, 0, s[20:21]
	v_or_b32_e32 v33, v17, v0
.LBB0_162:                              ;   in Loop: Header=BB0_108 Depth=3
	s_or_b64 exec, exec, s[78:79]
                                        ; implicit-def: $vgpr0
.LBB0_163:                              ;   in Loop: Header=BB0_108 Depth=3
	s_andn2_saveexec_b64 s[20:21], s[76:77]
; %bb.164:                              ;   in Loop: Header=BB0_108 Depth=3
	v_or_b32_e32 v33, 0x7e, v0
; %bb.165:                              ;   in Loop: Header=BB0_108 Depth=3
	s_or_b64 exec, exec, s[20:21]
                                        ; implicit-def: $vgpr17
.LBB0_166:                              ;   in Loop: Header=BB0_108 Depth=3
	s_andn2_saveexec_b64 s[20:21], s[74:75]
; %bb.167:                              ;   in Loop: Header=BB0_108 Depth=3
	v_or_b32_sdwa v33, v17, s39 dst_sel:DWORD dst_unused:UNUSED_PAD src0_sel:BYTE_3 src1_sel:DWORD
; %bb.168:                              ;   in Loop: Header=BB0_108 Depth=3
	s_or_b64 exec, exec, s[20:21]
	v_lshrrev_b16_e32 v17, 8, v19
	v_lshrrev_b16_e32 v0, 8, v40
	v_cmp_ne_u16_e32 vcc, 0, v17
                                        ; implicit-def: $vgpr20
	s_and_saveexec_b64 s[20:21], s[14:15]
	s_xor_b64 s[74:75], exec, s[20:21]
	s_cbranch_execz .LBB0_182
; %bb.169:                              ;   in Loop: Header=BB0_108 Depth=3
	v_mov_b32_e32 v27, 0
	v_mov_b32_e32 v20, 0
	s_and_saveexec_b64 s[76:77], vcc
	s_cbranch_execz .LBB0_175
; %bb.170:                              ;   in Loop: Header=BB0_108 Depth=3
	v_cmp_ne_u16_e64 s[20:21], s38, v17
	v_bfrev_b32_e32 v20, 1
	s_and_saveexec_b64 s[78:79], s[20:21]
	s_cbranch_execz .LBB0_174
; %bb.171:                              ;   in Loop: Header=BB0_108 Depth=3
	v_and_b32_e32 v28, 0x7f, v17
	v_cmp_ne_u32_e64 s[20:21], s39, v28
	v_mov_b32_e32 v20, 0x7f800001
	s_and_saveexec_b64 s[88:89], s[20:21]
	s_cbranch_execz .LBB0_173
; %bb.172:                              ;   in Loop: Header=BB0_108 Depth=3
	v_and_b32_e32 v20, 7, v17
	v_lshrrev_b32_e32 v56, 3, v28
	v_cmp_gt_u32_e64 s[20:21], 8, v28
	v_ffbh_u32_e32 v28, v20
	v_min_u32_e32 v28, 32, v28
	v_subrev_u32_e32 v42, 28, v28
	v_lshlrev_b64 v[42:43], v42, v[17:18]
	v_sub_u32_e32 v17, 29, v28
	v_and_b32_e32 v28, 7, v42
	v_cndmask_b32_e64 v17, v56, v17, s[20:21]
	v_cndmask_b32_e64 v20, v20, v28, s[20:21]
	v_lshlrev_b32_e32 v28, 16, v19
	v_lshlrev_b32_e32 v20, 20, v20
	v_and_b32_e32 v28, 0x80000000, v28
	v_lshl_add_u32 v17, v17, 23, v26
	v_or3_b32 v20, v28, v17, v20
.LBB0_173:                              ;   in Loop: Header=BB0_108 Depth=3
	s_or_b64 exec, exec, s[88:89]
.LBB0_174:                              ;   in Loop: Header=BB0_108 Depth=3
	s_or_b64 exec, exec, s[78:79]
.LBB0_175:                              ;   in Loop: Header=BB0_108 Depth=3
	s_or_b64 exec, exec, s[76:77]
	v_cmp_ne_u16_e64 s[20:21], 0, v0
	s_and_saveexec_b64 s[76:77], s[20:21]
	s_cbranch_execz .LBB0_181
; %bb.176:                              ;   in Loop: Header=BB0_108 Depth=3
	v_cmp_ne_u16_e64 s[20:21], s38, v0
	v_bfrev_b32_e32 v27, 1
	s_and_saveexec_b64 s[78:79], s[20:21]
	s_cbranch_execz .LBB0_180
; %bb.177:                              ;   in Loop: Header=BB0_108 Depth=3
	v_and_b32_e32 v17, 0x7f, v0
	v_cmp_ne_u32_e64 s[20:21], s39, v17
	v_mov_b32_e32 v27, 0x7f800001
	s_and_saveexec_b64 s[88:89], s[20:21]
	s_cbranch_execz .LBB0_179
; %bb.178:                              ;   in Loop: Header=BB0_108 Depth=3
	v_and_b32_e32 v42, 7, v0
	v_lshrrev_b32_e32 v43, 3, v17
	v_cmp_gt_u32_e64 s[20:21], 8, v17
	v_ffbh_u32_e32 v17, v42
	v_min_u32_e32 v17, 32, v17
	v_subrev_u32_e32 v27, 28, v17
	v_lshlrev_b64 v[27:28], v27, v[0:1]
	v_sub_u32_e32 v0, 29, v17
	v_and_b32_e32 v17, 7, v27
	v_cndmask_b32_e64 v0, v43, v0, s[20:21]
	v_cndmask_b32_e64 v17, v42, v17, s[20:21]
	v_lshlrev_b32_e32 v27, 16, v40
	v_lshlrev_b32_e32 v17, 20, v17
	v_and_b32_e32 v27, 0x80000000, v27
	v_lshl_add_u32 v0, v0, 23, v26
	v_or3_b32 v27, v27, v0, v17
.LBB0_179:                              ;   in Loop: Header=BB0_108 Depth=3
	s_or_b64 exec, exec, s[88:89]
.LBB0_180:                              ;   in Loop: Header=BB0_108 Depth=3
	s_or_b64 exec, exec, s[78:79]
.LBB0_181:                              ;   in Loop: Header=BB0_108 Depth=3
	s_or_b64 exec, exec, s[76:77]
	v_max_f32_e32 v0, v27, v27
	v_max_f32_e32 v17, v20, v20
	;; [unrolled: 1-line block ×3, first 2 shown]
                                        ; implicit-def: $vgpr0
                                        ; implicit-def: $vgpr17
.LBB0_182:                              ;   in Loop: Header=BB0_108 Depth=3
	s_andn2_saveexec_b64 s[20:21], s[74:75]
	s_cbranch_execz .LBB0_196
; %bb.183:                              ;   in Loop: Header=BB0_108 Depth=3
	v_mov_b32_e32 v27, 0
	v_mov_b32_e32 v20, 0
	s_and_saveexec_b64 s[74:75], vcc
	s_cbranch_execz .LBB0_189
; %bb.184:                              ;   in Loop: Header=BB0_108 Depth=3
	v_cmp_ne_u16_e32 vcc, s38, v17
	v_bfrev_b32_e32 v20, 1
	s_and_saveexec_b64 s[76:77], vcc
	s_cbranch_execz .LBB0_188
; %bb.185:                              ;   in Loop: Header=BB0_108 Depth=3
	v_and_b32_e32 v28, 0x7f, v17
	v_cmp_ne_u32_e32 vcc, s39, v28
	v_mov_b32_e32 v20, 0x7f800001
	s_and_saveexec_b64 s[78:79], vcc
	s_cbranch_execz .LBB0_187
; %bb.186:                              ;   in Loop: Header=BB0_108 Depth=3
	v_and_b32_e32 v20, 7, v17
	v_lshrrev_b32_e32 v56, 3, v28
	v_cmp_gt_u32_e32 vcc, 8, v28
	v_ffbh_u32_e32 v28, v20
	v_min_u32_e32 v28, 32, v28
	v_subrev_u32_e32 v42, 28, v28
	v_lshlrev_b64 v[42:43], v42, v[17:18]
	v_sub_u32_e32 v17, 29, v28
	v_and_b32_e32 v28, 7, v42
	v_cndmask_b32_e32 v17, v56, v17, vcc
	v_cndmask_b32_e32 v20, v20, v28, vcc
	v_lshlrev_b32_e32 v28, 16, v19
	v_lshlrev_b32_e32 v20, 20, v20
	v_and_b32_e32 v28, 0x80000000, v28
	v_lshl_add_u32 v17, v17, 23, v26
	v_or3_b32 v20, v28, v17, v20
.LBB0_187:                              ;   in Loop: Header=BB0_108 Depth=3
	s_or_b64 exec, exec, s[78:79]
.LBB0_188:                              ;   in Loop: Header=BB0_108 Depth=3
	s_or_b64 exec, exec, s[76:77]
.LBB0_189:                              ;   in Loop: Header=BB0_108 Depth=3
	s_or_b64 exec, exec, s[74:75]
	v_cmp_ne_u16_e32 vcc, 0, v0
	s_and_saveexec_b64 s[74:75], vcc
	s_cbranch_execz .LBB0_195
; %bb.190:                              ;   in Loop: Header=BB0_108 Depth=3
	v_cmp_ne_u16_e32 vcc, s38, v0
	v_bfrev_b32_e32 v27, 1
	s_and_saveexec_b64 s[76:77], vcc
	s_cbranch_execz .LBB0_194
; %bb.191:                              ;   in Loop: Header=BB0_108 Depth=3
	v_and_b32_e32 v17, 0x7f, v0
	v_cmp_ne_u32_e32 vcc, s39, v17
	v_mov_b32_e32 v27, 0x7f800001
	s_and_saveexec_b64 s[78:79], vcc
	s_cbranch_execz .LBB0_193
; %bb.192:                              ;   in Loop: Header=BB0_108 Depth=3
	v_and_b32_e32 v42, 7, v0
	v_lshrrev_b32_e32 v43, 3, v17
	v_cmp_gt_u32_e32 vcc, 8, v17
	v_ffbh_u32_e32 v17, v42
	v_min_u32_e32 v17, 32, v17
	v_subrev_u32_e32 v27, 28, v17
	v_lshlrev_b64 v[27:28], v27, v[0:1]
	v_sub_u32_e32 v0, 29, v17
	v_and_b32_e32 v17, 7, v27
	v_cndmask_b32_e32 v0, v43, v0, vcc
	v_cndmask_b32_e32 v17, v42, v17, vcc
	v_lshlrev_b32_e32 v27, 16, v40
	v_lshlrev_b32_e32 v17, 20, v17
	v_and_b32_e32 v27, 0x80000000, v27
	v_lshl_add_u32 v0, v0, 23, v26
	v_or3_b32 v27, v27, v0, v17
.LBB0_193:                              ;   in Loop: Header=BB0_108 Depth=3
	s_or_b64 exec, exec, s[78:79]
.LBB0_194:                              ;   in Loop: Header=BB0_108 Depth=3
	s_or_b64 exec, exec, s[76:77]
.LBB0_195:                              ;   in Loop: Header=BB0_108 Depth=3
	s_or_b64 exec, exec, s[74:75]
	v_max_f32_e32 v0, v27, v27
	v_max_f32_e32 v17, v20, v20
	v_min_f32_e32 v20, v17, v0
.LBB0_196:                              ;   in Loop: Header=BB0_108 Depth=3
	s_or_b64 exec, exec, s[20:21]
	v_and_b32_e32 v27, 0x7f800000, v20
	v_mov_b32_e32 v28, v41
	v_cmp_ne_u64_e32 vcc, s[56:57], v[27:28]
                                        ; implicit-def: $vgpr59
	s_and_saveexec_b64 s[20:21], vcc
	s_xor_b64 s[74:75], exec, s[20:21]
	s_cbranch_execz .LBB0_210
; %bb.197:                              ;   in Loop: Header=BB0_108 Depth=3
	v_and_b32_e32 v27, 0x7fffffff, v20
	v_mov_b32_e32 v28, v41
	v_cmp_gt_u64_e32 vcc, s[58:59], v[27:28]
	v_and_b32_sdwa v0, v20, s38 dst_sel:DWORD dst_unused:UNUSED_PAD src0_sel:BYTE_3 src1_sel:DWORD
                                        ; implicit-def: $vgpr59
	s_and_saveexec_b64 s[20:21], vcc
	s_xor_b64 s[76:77], exec, s[20:21]
	s_cbranch_execz .LBB0_207
; %bb.198:                              ;   in Loop: Header=BB0_108 Depth=3
	v_mov_b32_e32 v59, 0
	v_cmp_ne_u32_e32 vcc, 0, v20
	s_and_saveexec_b64 s[78:79], vcc
	s_cbranch_execz .LBB0_206
; %bb.199:                              ;   in Loop: Header=BB0_108 Depth=3
	v_bfe_u32 v17, v20, 23, 8
	v_and_b32_e32 v27, 0x7fffff, v20
	v_cmp_gt_u32_e64 s[20:21], s48, v17
	v_sub_u32_e32 v20, 0x79, v17
	v_cmp_eq_u32_e32 vcc, 0, v17
	v_cndmask_b32_e64 v20, 0, v20, s[20:21]
	v_cndmask_b32_e32 v20, v20, v7, vcc
	v_add_u32_e32 v42, 20, v20
	v_or_b32_e32 v28, 0x800000, v27
	v_lshlrev_b64 v[42:43], v42, -1
	v_cndmask_b32_e32 v27, v28, v27, vcc
	v_mov_b32_e32 v28, v41
	v_add_u32_e32 v56, 19, v20
	v_bfi_b32 v42, v42, 0, v27
	v_lshlrev_b64 v[56:57], v56, 1
	v_lshrrev_b64 v[27:28], v20, v[27:28]
	v_bfi_b32 v43, v43, 0, 0
	v_cmp_eq_u64_e64 s[20:21], v[42:43], v[56:57]
	v_mov_b32_e32 v43, v28
	v_mov_b32_e32 v42, v27
	s_and_saveexec_b64 s[88:89], s[20:21]
; %bb.200:                              ;   in Loop: Header=BB0_108 Depth=3
	v_bfe_u32 v28, v27, 20, 1
	v_add_co_u32_e64 v28, s[20:21], v27, v28
	v_add_co_u32_e64 v42, s[20:21], -1, v28
; %bb.201:                              ;   in Loop: Header=BB0_108 Depth=3
	s_or_b64 exec, exec, s[88:89]
	v_add_u32_e32 v17, 0xffffff81, v17
	v_cndmask_b32_e32 v17, v17, v8, vcc
	v_lshrrev_b32_e32 v28, 23, v27
	v_add3_u32 v43, v20, v17, v28
	v_add_u32_e32 v20, 6, v43
	v_and_b32_e32 v17, 0xfffff, v42
	v_add_u32_e32 v27, v17, v27
	v_mov_b32_e32 v28, v41
	v_cmp_ne_u32_e32 vcc, 0, v20
                                        ; implicit-def: $vgpr17
	s_and_saveexec_b64 s[20:21], vcc
	s_xor_b64 s[20:21], exec, s[20:21]
; %bb.202:                              ;   in Loop: Header=BB0_108 Depth=3
	v_cmp_lt_u64_e32 vcc, s[60:61], v[27:28]
	v_add_u32_e32 v17, 7, v43
	v_cndmask_b32_e32 v17, v20, v17, vcc
	v_cndmask_b32_e64 v20, 0, 1, vcc
	v_lshrrev_b64 v[27:28], v20, v[27:28]
; %bb.203:                              ;   in Loop: Header=BB0_108 Depth=3
	s_andn2_saveexec_b64 s[20:21], s[20:21]
; %bb.204:                              ;   in Loop: Header=BB0_108 Depth=3
	v_bfe_u32 v17, v27, 23, 1
; %bb.205:                              ;   in Loop: Header=BB0_108 Depth=3
	s_or_b64 exec, exec, s[20:21]
	v_lshrrev_b64 v[27:28], 20, v[27:28]
	v_cmp_gt_i32_e32 vcc, 16, v17
	v_cndmask_b32_e32 v28, 0, v28, vcc
	v_cndmask_b32_e32 v27, 7, v27, vcc
	v_cmp_eq_u32_e32 vcc, 0, v17
	v_min_i32_e32 v17, 15, v17
	v_cmp_eq_u64_e64 s[20:21], 0, v[27:28]
	v_lshlrev_b32_e32 v17, 3, v17
	v_and_b32_e32 v17, 0xf8, v17
	v_and_or_b32 v17, v27, 7, v17
	s_and_b64 s[20:21], vcc, s[20:21]
	v_cndmask_b32_e64 v17, v17, 0, s[20:21]
	v_or_b32_e32 v59, v17, v0
.LBB0_206:                              ;   in Loop: Header=BB0_108 Depth=3
	s_or_b64 exec, exec, s[78:79]
                                        ; implicit-def: $vgpr0
.LBB0_207:                              ;   in Loop: Header=BB0_108 Depth=3
	s_andn2_saveexec_b64 s[20:21], s[76:77]
; %bb.208:                              ;   in Loop: Header=BB0_108 Depth=3
	v_or_b32_e32 v59, 0x7e, v0
; %bb.209:                              ;   in Loop: Header=BB0_108 Depth=3
	s_or_b64 exec, exec, s[20:21]
                                        ; implicit-def: $vgpr20
.LBB0_210:                              ;   in Loop: Header=BB0_108 Depth=3
	s_andn2_saveexec_b64 s[20:21], s[74:75]
; %bb.211:                              ;   in Loop: Header=BB0_108 Depth=3
	v_or_b32_sdwa v59, v20, s39 dst_sel:DWORD dst_unused:UNUSED_PAD src0_sel:BYTE_3 src1_sel:DWORD
; %bb.212:                              ;   in Loop: Header=BB0_108 Depth=3
	s_or_b64 exec, exec, s[20:21]
	v_lshrrev_b32_e32 v17, 16, v19
	v_lshrrev_b32_e32 v0, 16, v40
	v_cmp_ne_u16_sdwa s[20:21], v17, v41 src0_sel:BYTE_0 src1_sel:DWORD
                                        ; implicit-def: $vgpr20
	s_and_saveexec_b64 s[74:75], s[14:15]
	s_xor_b64 s[74:75], exec, s[74:75]
	s_cbranch_execz .LBB0_226
; %bb.213:                              ;   in Loop: Header=BB0_108 Depth=3
	v_mov_b32_e32 v27, 0
	v_mov_b32_e32 v20, 0
	s_and_saveexec_b64 s[76:77], s[20:21]
	s_cbranch_execz .LBB0_219
; %bb.214:                              ;   in Loop: Header=BB0_108 Depth=3
	v_cmp_ne_u16_sdwa s[88:89], v17, s38 src0_sel:BYTE_0 src1_sel:DWORD
	v_bfrev_b32_e32 v20, 1
	s_and_saveexec_b64 s[78:79], s[88:89]
	s_cbranch_execz .LBB0_218
; %bb.215:                              ;   in Loop: Header=BB0_108 Depth=3
	v_bfe_u32 v28, v19, 16, 7
	v_cmp_ne_u32_e32 vcc, s39, v28
	v_mov_b32_e32 v20, 0x7f800001
	s_and_saveexec_b64 s[88:89], vcc
	s_cbranch_execz .LBB0_217
; %bb.216:                              ;   in Loop: Header=BB0_108 Depth=3
	v_and_b32_e32 v20, 7, v17
	v_lshrrev_b32_e32 v56, 3, v28
	v_cmp_gt_u32_e32 vcc, 8, v28
	v_ffbh_u32_e32 v28, v20
	v_min_u32_e32 v28, 32, v28
	v_subrev_u32_e32 v42, 28, v28
	v_lshlrev_b64 v[42:43], v42, v[17:18]
	v_sub_u32_e32 v28, 29, v28
	v_and_b32_e32 v42, 7, v42
	v_cndmask_b32_e32 v28, v56, v28, vcc
	v_cndmask_b32_e32 v20, v20, v42, vcc
	v_lshlrev_b32_e32 v17, 24, v17
	v_lshlrev_b32_e32 v20, 20, v20
	v_and_b32_e32 v17, 0x80000000, v17
	v_lshl_add_u32 v28, v28, 23, v26
	v_or3_b32 v20, v17, v28, v20
.LBB0_217:                              ;   in Loop: Header=BB0_108 Depth=3
	s_or_b64 exec, exec, s[88:89]
.LBB0_218:                              ;   in Loop: Header=BB0_108 Depth=3
	s_or_b64 exec, exec, s[78:79]
.LBB0_219:                              ;   in Loop: Header=BB0_108 Depth=3
	s_or_b64 exec, exec, s[76:77]
	v_and_b32_sdwa v17, v40, s37 dst_sel:DWORD dst_unused:UNUSED_PAD src0_sel:WORD_1 src1_sel:DWORD
	v_cmp_ne_u16_e32 vcc, 0, v17
	s_and_saveexec_b64 s[76:77], vcc
	s_cbranch_execz .LBB0_225
; %bb.220:                              ;   in Loop: Header=BB0_108 Depth=3
	v_cmp_ne_u16_e32 vcc, s38, v17
	v_bfrev_b32_e32 v27, 1
	s_and_saveexec_b64 s[78:79], vcc
	s_cbranch_execz .LBB0_224
; %bb.221:                              ;   in Loop: Header=BB0_108 Depth=3
	v_bfe_u32 v17, v40, 16, 7
	v_cmp_ne_u32_e32 vcc, s39, v17
	v_mov_b32_e32 v27, 0x7f800001
	s_and_saveexec_b64 s[88:89], vcc
	s_cbranch_execz .LBB0_223
; %bb.222:                              ;   in Loop: Header=BB0_108 Depth=3
	v_and_b32_e32 v42, 7, v0
	v_lshrrev_b32_e32 v43, 3, v17
	v_cmp_gt_u32_e32 vcc, 8, v17
	v_ffbh_u32_e32 v17, v42
	v_min_u32_e32 v17, 32, v17
	v_subrev_u32_e32 v27, 28, v17
	v_lshlrev_b64 v[27:28], v27, v[0:1]
	v_sub_u32_e32 v0, 29, v17
	v_and_b32_e32 v17, 7, v27
	v_cndmask_b32_e32 v0, v43, v0, vcc
	v_cndmask_b32_e32 v17, v42, v17, vcc
	v_lshlrev_b32_sdwa v27, v54, v40 dst_sel:DWORD dst_unused:UNUSED_PAD src0_sel:DWORD src1_sel:WORD_1
	v_lshlrev_b32_e32 v17, 20, v17
	v_and_b32_e32 v27, 0x80000000, v27
	v_lshl_add_u32 v0, v0, 23, v26
	v_or3_b32 v27, v27, v0, v17
.LBB0_223:                              ;   in Loop: Header=BB0_108 Depth=3
	s_or_b64 exec, exec, s[88:89]
.LBB0_224:                              ;   in Loop: Header=BB0_108 Depth=3
	s_or_b64 exec, exec, s[78:79]
.LBB0_225:                              ;   in Loop: Header=BB0_108 Depth=3
	s_or_b64 exec, exec, s[76:77]
	v_max_f32_e32 v0, v27, v27
	v_max_f32_e32 v17, v20, v20
	;; [unrolled: 1-line block ×3, first 2 shown]
                                        ; implicit-def: $vgpr17
                                        ; implicit-def: $vgpr0
.LBB0_226:                              ;   in Loop: Header=BB0_108 Depth=3
	s_andn2_saveexec_b64 s[74:75], s[74:75]
	s_cbranch_execz .LBB0_240
; %bb.227:                              ;   in Loop: Header=BB0_108 Depth=3
	v_mov_b32_e32 v27, 0
	v_mov_b32_e32 v20, 0
	s_and_saveexec_b64 s[76:77], s[20:21]
	s_cbranch_execz .LBB0_233
; %bb.228:                              ;   in Loop: Header=BB0_108 Depth=3
	v_cmp_ne_u16_sdwa s[78:79], v17, s38 src0_sel:BYTE_0 src1_sel:DWORD
	v_bfrev_b32_e32 v20, 1
	s_and_saveexec_b64 s[20:21], s[78:79]
	s_cbranch_execz .LBB0_232
; %bb.229:                              ;   in Loop: Header=BB0_108 Depth=3
	v_bfe_u32 v28, v19, 16, 7
	v_cmp_ne_u32_e32 vcc, s39, v28
	v_mov_b32_e32 v20, 0x7f800001
	s_and_saveexec_b64 s[78:79], vcc
	s_cbranch_execz .LBB0_231
; %bb.230:                              ;   in Loop: Header=BB0_108 Depth=3
	v_and_b32_e32 v20, 7, v17
	v_lshrrev_b32_e32 v56, 3, v28
	v_cmp_gt_u32_e32 vcc, 8, v28
	v_ffbh_u32_e32 v28, v20
	v_min_u32_e32 v28, 32, v28
	v_subrev_u32_e32 v42, 28, v28
	v_lshlrev_b64 v[42:43], v42, v[17:18]
	v_sub_u32_e32 v28, 29, v28
	v_and_b32_e32 v42, 7, v42
	v_cndmask_b32_e32 v28, v56, v28, vcc
	v_cndmask_b32_e32 v20, v20, v42, vcc
	v_lshlrev_b32_e32 v17, 24, v17
	v_lshlrev_b32_e32 v20, 20, v20
	v_and_b32_e32 v17, 0x80000000, v17
	v_lshl_add_u32 v28, v28, 23, v26
	v_or3_b32 v20, v17, v28, v20
.LBB0_231:                              ;   in Loop: Header=BB0_108 Depth=3
	s_or_b64 exec, exec, s[78:79]
.LBB0_232:                              ;   in Loop: Header=BB0_108 Depth=3
	s_or_b64 exec, exec, s[20:21]
.LBB0_233:                              ;   in Loop: Header=BB0_108 Depth=3
	s_or_b64 exec, exec, s[76:77]
	v_and_b32_sdwa v17, v40, s37 dst_sel:DWORD dst_unused:UNUSED_PAD src0_sel:WORD_1 src1_sel:DWORD
	v_cmp_ne_u16_e32 vcc, 0, v17
	s_and_saveexec_b64 s[20:21], vcc
	s_cbranch_execz .LBB0_239
; %bb.234:                              ;   in Loop: Header=BB0_108 Depth=3
	v_cmp_ne_u16_e32 vcc, s38, v17
	v_bfrev_b32_e32 v27, 1
	s_and_saveexec_b64 s[76:77], vcc
	s_cbranch_execz .LBB0_238
; %bb.235:                              ;   in Loop: Header=BB0_108 Depth=3
	v_bfe_u32 v17, v40, 16, 7
	v_cmp_ne_u32_e32 vcc, s39, v17
	v_mov_b32_e32 v27, 0x7f800001
	s_and_saveexec_b64 s[78:79], vcc
	s_cbranch_execz .LBB0_237
; %bb.236:                              ;   in Loop: Header=BB0_108 Depth=3
	v_and_b32_e32 v42, 7, v0
	v_lshrrev_b32_e32 v43, 3, v17
	v_cmp_gt_u32_e32 vcc, 8, v17
	v_ffbh_u32_e32 v17, v42
	v_min_u32_e32 v17, 32, v17
	v_subrev_u32_e32 v27, 28, v17
	v_lshlrev_b64 v[27:28], v27, v[0:1]
	v_sub_u32_e32 v0, 29, v17
	v_and_b32_e32 v17, 7, v27
	v_cndmask_b32_e32 v0, v43, v0, vcc
	v_cndmask_b32_e32 v17, v42, v17, vcc
	v_lshlrev_b32_sdwa v27, v54, v40 dst_sel:DWORD dst_unused:UNUSED_PAD src0_sel:DWORD src1_sel:WORD_1
	v_lshlrev_b32_e32 v17, 20, v17
	v_and_b32_e32 v27, 0x80000000, v27
	v_lshl_add_u32 v0, v0, 23, v26
	v_or3_b32 v27, v27, v0, v17
.LBB0_237:                              ;   in Loop: Header=BB0_108 Depth=3
	s_or_b64 exec, exec, s[78:79]
.LBB0_238:                              ;   in Loop: Header=BB0_108 Depth=3
	s_or_b64 exec, exec, s[76:77]
.LBB0_239:                              ;   in Loop: Header=BB0_108 Depth=3
	s_or_b64 exec, exec, s[20:21]
	v_max_f32_e32 v0, v27, v27
	v_max_f32_e32 v17, v20, v20
	v_min_f32_e32 v20, v17, v0
.LBB0_240:                              ;   in Loop: Header=BB0_108 Depth=3
	s_or_b64 exec, exec, s[74:75]
	v_and_b32_e32 v27, 0x7f800000, v20
	v_mov_b32_e32 v28, v41
	v_cmp_ne_u64_e32 vcc, s[56:57], v[27:28]
                                        ; implicit-def: $vgpr42
	s_and_saveexec_b64 s[20:21], vcc
	s_xor_b64 s[74:75], exec, s[20:21]
	s_cbranch_execz .LBB0_254
; %bb.241:                              ;   in Loop: Header=BB0_108 Depth=3
	v_and_b32_e32 v27, 0x7fffffff, v20
	v_mov_b32_e32 v28, v41
	v_cmp_gt_u64_e32 vcc, s[58:59], v[27:28]
	v_and_b32_sdwa v0, v20, s38 dst_sel:DWORD dst_unused:UNUSED_PAD src0_sel:BYTE_3 src1_sel:DWORD
                                        ; implicit-def: $vgpr42
	s_and_saveexec_b64 s[20:21], vcc
	s_xor_b64 s[76:77], exec, s[20:21]
	s_cbranch_execz .LBB0_251
; %bb.242:                              ;   in Loop: Header=BB0_108 Depth=3
	v_mov_b32_e32 v42, 0
	v_cmp_ne_u32_e32 vcc, 0, v20
	s_and_saveexec_b64 s[78:79], vcc
	s_cbranch_execz .LBB0_250
; %bb.243:                              ;   in Loop: Header=BB0_108 Depth=3
	v_bfe_u32 v17, v20, 23, 8
	v_and_b32_e32 v27, 0x7fffff, v20
	v_cmp_gt_u32_e64 s[20:21], s48, v17
	v_sub_u32_e32 v20, 0x79, v17
	v_cmp_eq_u32_e32 vcc, 0, v17
	v_cndmask_b32_e64 v20, 0, v20, s[20:21]
	v_cndmask_b32_e32 v20, v20, v7, vcc
	v_add_u32_e32 v42, 20, v20
	v_or_b32_e32 v28, 0x800000, v27
	v_lshlrev_b64 v[42:43], v42, -1
	v_cndmask_b32_e32 v27, v28, v27, vcc
	v_mov_b32_e32 v28, v41
	v_add_u32_e32 v56, 19, v20
	v_bfi_b32 v42, v42, 0, v27
	v_lshlrev_b64 v[56:57], v56, 1
	v_lshrrev_b64 v[27:28], v20, v[27:28]
	v_bfi_b32 v43, v43, 0, 0
	v_cmp_eq_u64_e64 s[20:21], v[42:43], v[56:57]
	v_mov_b32_e32 v43, v28
	v_mov_b32_e32 v42, v27
	s_and_saveexec_b64 s[88:89], s[20:21]
; %bb.244:                              ;   in Loop: Header=BB0_108 Depth=3
	v_bfe_u32 v28, v27, 20, 1
	v_add_co_u32_e64 v28, s[20:21], v27, v28
	v_add_co_u32_e64 v42, s[20:21], -1, v28
; %bb.245:                              ;   in Loop: Header=BB0_108 Depth=3
	s_or_b64 exec, exec, s[88:89]
	v_add_u32_e32 v17, 0xffffff81, v17
	v_cndmask_b32_e32 v17, v17, v8, vcc
	v_lshrrev_b32_e32 v28, 23, v27
	v_add3_u32 v43, v20, v17, v28
	v_add_u32_e32 v20, 6, v43
	v_and_b32_e32 v17, 0xfffff, v42
	v_add_u32_e32 v27, v17, v27
	v_mov_b32_e32 v28, v41
	v_cmp_ne_u32_e32 vcc, 0, v20
                                        ; implicit-def: $vgpr17
	s_and_saveexec_b64 s[20:21], vcc
	s_xor_b64 s[20:21], exec, s[20:21]
; %bb.246:                              ;   in Loop: Header=BB0_108 Depth=3
	v_cmp_lt_u64_e32 vcc, s[60:61], v[27:28]
	v_add_u32_e32 v17, 7, v43
	v_cndmask_b32_e32 v17, v20, v17, vcc
	v_cndmask_b32_e64 v20, 0, 1, vcc
	v_lshrrev_b64 v[27:28], v20, v[27:28]
; %bb.247:                              ;   in Loop: Header=BB0_108 Depth=3
	s_andn2_saveexec_b64 s[20:21], s[20:21]
; %bb.248:                              ;   in Loop: Header=BB0_108 Depth=3
	v_bfe_u32 v17, v27, 23, 1
; %bb.249:                              ;   in Loop: Header=BB0_108 Depth=3
	s_or_b64 exec, exec, s[20:21]
	v_lshrrev_b64 v[27:28], 20, v[27:28]
	v_cmp_gt_i32_e32 vcc, 16, v17
	v_cndmask_b32_e32 v28, 0, v28, vcc
	v_cndmask_b32_e32 v27, 7, v27, vcc
	v_cmp_eq_u32_e32 vcc, 0, v17
	v_min_i32_e32 v17, 15, v17
	v_cmp_eq_u64_e64 s[20:21], 0, v[27:28]
	v_lshlrev_b32_e32 v17, 3, v17
	v_and_b32_e32 v17, 0xf8, v17
	v_and_or_b32 v17, v27, 7, v17
	s_and_b64 s[20:21], vcc, s[20:21]
	v_cndmask_b32_e64 v17, v17, 0, s[20:21]
	v_or_b32_e32 v42, v17, v0
.LBB0_250:                              ;   in Loop: Header=BB0_108 Depth=3
	s_or_b64 exec, exec, s[78:79]
                                        ; implicit-def: $vgpr0
.LBB0_251:                              ;   in Loop: Header=BB0_108 Depth=3
	s_andn2_saveexec_b64 s[20:21], s[76:77]
; %bb.252:                              ;   in Loop: Header=BB0_108 Depth=3
	v_or_b32_e32 v42, 0x7e, v0
; %bb.253:                              ;   in Loop: Header=BB0_108 Depth=3
	s_or_b64 exec, exec, s[20:21]
                                        ; implicit-def: $vgpr20
.LBB0_254:                              ;   in Loop: Header=BB0_108 Depth=3
	s_andn2_saveexec_b64 s[20:21], s[74:75]
; %bb.255:                              ;   in Loop: Header=BB0_108 Depth=3
	v_or_b32_sdwa v42, v20, s39 dst_sel:DWORD dst_unused:UNUSED_PAD src0_sel:BYTE_3 src1_sel:DWORD
; %bb.256:                              ;   in Loop: Header=BB0_108 Depth=3
	s_or_b64 exec, exec, s[20:21]
	v_lshrrev_b32_e32 v17, 24, v19
	v_lshrrev_b32_e32 v0, 24, v40
	v_cmp_lt_u32_e32 vcc, s49, v19
                                        ; implicit-def: $vgpr20
	s_and_saveexec_b64 s[20:21], s[14:15]
	s_xor_b64 s[74:75], exec, s[20:21]
	s_cbranch_execz .LBB0_270
; %bb.257:                              ;   in Loop: Header=BB0_108 Depth=3
	v_mov_b32_e32 v27, 0
	v_mov_b32_e32 v20, 0
	s_and_saveexec_b64 s[76:77], vcc
	s_cbranch_execz .LBB0_263
; %bb.258:                              ;   in Loop: Header=BB0_108 Depth=3
	v_cmp_ne_u32_e64 s[20:21], s38, v17
	v_bfrev_b32_e32 v20, 1
	s_and_saveexec_b64 s[78:79], s[20:21]
	s_cbranch_execz .LBB0_262
; %bb.259:                              ;   in Loop: Header=BB0_108 Depth=3
	v_bfe_u32 v19, v19, 24, 7
	v_cmp_ne_u32_e64 s[20:21], s39, v19
	v_mov_b32_e32 v20, 0x7f800001
	s_and_saveexec_b64 s[88:89], s[20:21]
	s_cbranch_execz .LBB0_261
; %bb.260:                              ;   in Loop: Header=BB0_108 Depth=3
	v_and_b32_e32 v28, 7, v17
	v_lshrrev_b32_e32 v43, 3, v19
	v_cmp_gt_u32_e64 s[20:21], 8, v19
	v_ffbh_u32_e32 v19, v28
	v_min_u32_e32 v56, 32, v19
	v_subrev_u32_e32 v19, 28, v56
	v_lshlrev_b64 v[19:20], v19, v[17:18]
	v_sub_u32_e32 v20, 29, v56
	v_and_b32_e32 v19, 7, v19
	v_cndmask_b32_e64 v20, v43, v20, s[20:21]
	v_cndmask_b32_e64 v19, v28, v19, s[20:21]
	v_lshlrev_b32_e32 v17, 24, v17
	v_lshlrev_b32_e32 v19, 20, v19
	v_and_b32_e32 v17, 0x80000000, v17
	v_lshl_add_u32 v20, v20, 23, v26
	v_or3_b32 v20, v17, v20, v19
.LBB0_261:                              ;   in Loop: Header=BB0_108 Depth=3
	s_or_b64 exec, exec, s[88:89]
.LBB0_262:                              ;   in Loop: Header=BB0_108 Depth=3
	s_or_b64 exec, exec, s[78:79]
.LBB0_263:                              ;   in Loop: Header=BB0_108 Depth=3
	s_or_b64 exec, exec, s[76:77]
	v_cmp_lt_u32_e64 s[20:21], s49, v40
	s_and_saveexec_b64 s[76:77], s[20:21]
	s_cbranch_execz .LBB0_269
; %bb.264:                              ;   in Loop: Header=BB0_108 Depth=3
	v_cmp_ne_u32_sdwa s[20:21], v40, s38 src0_sel:BYTE_3 src1_sel:DWORD
	v_bfrev_b32_e32 v27, 1
	s_and_saveexec_b64 s[78:79], s[20:21]
	s_cbranch_execz .LBB0_268
; %bb.265:                              ;   in Loop: Header=BB0_108 Depth=3
	v_bfe_u32 v17, v40, 24, 7
	v_cmp_ne_u32_e64 s[20:21], s39, v17
	v_mov_b32_e32 v27, 0x7f800001
	s_and_saveexec_b64 s[88:89], s[20:21]
	s_cbranch_execz .LBB0_267
; %bb.266:                              ;   in Loop: Header=BB0_108 Depth=3
	v_and_b32_e32 v19, 7, v0
	v_lshrrev_b32_e32 v43, 3, v17
	v_cmp_gt_u32_e64 s[20:21], 8, v17
	v_ffbh_u32_e32 v17, v19
	v_min_u32_e32 v17, 32, v17
	v_subrev_u32_e32 v27, 28, v17
	v_lshlrev_b64 v[27:28], v27, v[0:1]
	v_sub_u32_e32 v0, 29, v17
	v_and_b32_e32 v17, 7, v27
	v_cndmask_b32_e64 v0, v43, v0, s[20:21]
	v_cndmask_b32_e64 v17, v19, v17, s[20:21]
	v_lshlrev_b32_sdwa v19, v54, v40 dst_sel:DWORD dst_unused:UNUSED_PAD src0_sel:DWORD src1_sel:BYTE_3
	v_lshlrev_b32_e32 v17, 20, v17
	v_and_b32_e32 v19, 0x80000000, v19
	v_lshl_add_u32 v0, v0, 23, v26
	v_or3_b32 v27, v19, v0, v17
.LBB0_267:                              ;   in Loop: Header=BB0_108 Depth=3
	s_or_b64 exec, exec, s[88:89]
.LBB0_268:                              ;   in Loop: Header=BB0_108 Depth=3
	s_or_b64 exec, exec, s[78:79]
.LBB0_269:                              ;   in Loop: Header=BB0_108 Depth=3
	s_or_b64 exec, exec, s[76:77]
	v_max_f32_e32 v0, v27, v27
	v_max_f32_e32 v17, v20, v20
	;; [unrolled: 1-line block ×3, first 2 shown]
                                        ; implicit-def: $vgpr17
                                        ; implicit-def: $vgpr0
.LBB0_270:                              ;   in Loop: Header=BB0_108 Depth=3
	s_andn2_saveexec_b64 s[20:21], s[74:75]
	s_cbranch_execz .LBB0_284
; %bb.271:                              ;   in Loop: Header=BB0_108 Depth=3
	v_mov_b32_e32 v27, 0
	v_mov_b32_e32 v20, 0
	s_and_saveexec_b64 s[74:75], vcc
	s_cbranch_execz .LBB0_277
; %bb.272:                              ;   in Loop: Header=BB0_108 Depth=3
	v_cmp_ne_u32_e32 vcc, s38, v17
	v_bfrev_b32_e32 v20, 1
	s_and_saveexec_b64 s[76:77], vcc
	s_cbranch_execz .LBB0_276
; %bb.273:                              ;   in Loop: Header=BB0_108 Depth=3
	v_bfe_u32 v19, v19, 24, 7
	v_cmp_ne_u32_e32 vcc, s39, v19
	v_mov_b32_e32 v20, 0x7f800001
	s_and_saveexec_b64 s[78:79], vcc
	s_cbranch_execz .LBB0_275
; %bb.274:                              ;   in Loop: Header=BB0_108 Depth=3
	v_and_b32_e32 v28, 7, v17
	v_lshrrev_b32_e32 v43, 3, v19
	v_cmp_gt_u32_e32 vcc, 8, v19
	v_ffbh_u32_e32 v19, v28
	v_min_u32_e32 v56, 32, v19
	v_subrev_u32_e32 v19, 28, v56
	v_lshlrev_b64 v[19:20], v19, v[17:18]
	v_sub_u32_e32 v20, 29, v56
	v_and_b32_e32 v19, 7, v19
	v_cndmask_b32_e32 v20, v43, v20, vcc
	v_cndmask_b32_e32 v19, v28, v19, vcc
	v_lshlrev_b32_e32 v17, 24, v17
	v_lshlrev_b32_e32 v19, 20, v19
	v_and_b32_e32 v17, 0x80000000, v17
	v_lshl_add_u32 v20, v20, 23, v26
	v_or3_b32 v20, v17, v20, v19
.LBB0_275:                              ;   in Loop: Header=BB0_108 Depth=3
	s_or_b64 exec, exec, s[78:79]
.LBB0_276:                              ;   in Loop: Header=BB0_108 Depth=3
	s_or_b64 exec, exec, s[76:77]
.LBB0_277:                              ;   in Loop: Header=BB0_108 Depth=3
	s_or_b64 exec, exec, s[74:75]
	v_cmp_lt_u32_e32 vcc, s49, v40
	s_and_saveexec_b64 s[74:75], vcc
	s_cbranch_execz .LBB0_283
; %bb.278:                              ;   in Loop: Header=BB0_108 Depth=3
	v_cmp_ne_u32_sdwa s[78:79], v40, s38 src0_sel:BYTE_3 src1_sel:DWORD
	v_bfrev_b32_e32 v27, 1
	s_and_saveexec_b64 s[76:77], s[78:79]
	s_cbranch_execz .LBB0_282
; %bb.279:                              ;   in Loop: Header=BB0_108 Depth=3
	v_bfe_u32 v17, v40, 24, 7
	v_cmp_ne_u32_e32 vcc, s39, v17
	v_mov_b32_e32 v27, 0x7f800001
	s_and_saveexec_b64 s[78:79], vcc
	s_cbranch_execz .LBB0_281
; %bb.280:                              ;   in Loop: Header=BB0_108 Depth=3
	v_and_b32_e32 v19, 7, v0
	v_lshrrev_b32_e32 v43, 3, v17
	v_cmp_gt_u32_e32 vcc, 8, v17
	v_ffbh_u32_e32 v17, v19
	v_min_u32_e32 v17, 32, v17
	v_subrev_u32_e32 v27, 28, v17
	v_lshlrev_b64 v[27:28], v27, v[0:1]
	v_sub_u32_e32 v0, 29, v17
	v_and_b32_e32 v17, 7, v27
	v_cndmask_b32_e32 v0, v43, v0, vcc
	v_cndmask_b32_e32 v17, v19, v17, vcc
	v_lshlrev_b32_sdwa v19, v54, v40 dst_sel:DWORD dst_unused:UNUSED_PAD src0_sel:DWORD src1_sel:BYTE_3
	v_lshlrev_b32_e32 v17, 20, v17
	v_and_b32_e32 v19, 0x80000000, v19
	v_lshl_add_u32 v0, v0, 23, v26
	v_or3_b32 v27, v19, v0, v17
.LBB0_281:                              ;   in Loop: Header=BB0_108 Depth=3
	s_or_b64 exec, exec, s[78:79]
.LBB0_282:                              ;   in Loop: Header=BB0_108 Depth=3
	s_or_b64 exec, exec, s[76:77]
.LBB0_283:                              ;   in Loop: Header=BB0_108 Depth=3
	s_or_b64 exec, exec, s[74:75]
	v_max_f32_e32 v0, v27, v27
	v_max_f32_e32 v17, v20, v20
	v_min_f32_e32 v20, v17, v0
.LBB0_284:                              ;   in Loop: Header=BB0_108 Depth=3
	s_or_b64 exec, exec, s[20:21]
	v_and_b32_e32 v40, 0x7f800000, v20
	v_cmp_ne_u64_e32 vcc, s[56:57], v[40:41]
                                        ; implicit-def: $vgpr43
	s_and_saveexec_b64 s[20:21], vcc
	s_xor_b64 s[74:75], exec, s[20:21]
	s_cbranch_execz .LBB0_298
; %bb.285:                              ;   in Loop: Header=BB0_108 Depth=3
	v_and_b32_e32 v40, 0x7fffffff, v20
	v_cmp_gt_u64_e32 vcc, s[58:59], v[40:41]
	v_and_b32_sdwa v0, v20, s38 dst_sel:DWORD dst_unused:UNUSED_PAD src0_sel:BYTE_3 src1_sel:DWORD
                                        ; implicit-def: $vgpr43
	s_and_saveexec_b64 s[20:21], vcc
	s_xor_b64 s[76:77], exec, s[20:21]
	s_cbranch_execz .LBB0_295
; %bb.286:                              ;   in Loop: Header=BB0_108 Depth=3
	v_mov_b32_e32 v43, 0
	v_cmp_ne_u32_e32 vcc, 0, v20
	s_and_saveexec_b64 s[78:79], vcc
	s_cbranch_execz .LBB0_294
; %bb.287:                              ;   in Loop: Header=BB0_108 Depth=3
	v_bfe_u32 v17, v20, 23, 8
	v_and_b32_e32 v19, 0x7fffff, v20
	v_cmp_gt_u32_e64 s[20:21], s48, v17
	v_sub_u32_e32 v20, 0x79, v17
	v_cmp_eq_u32_e32 vcc, 0, v17
	v_cndmask_b32_e64 v20, 0, v20, s[20:21]
	v_or_b32_e32 v27, 0x800000, v19
	v_cndmask_b32_e32 v43, v20, v7, vcc
	v_cndmask_b32_e32 v40, v27, v19, vcc
	v_add_u32_e32 v19, 20, v43
	v_lshlrev_b64 v[19:20], v19, -1
	v_add_u32_e32 v27, 19, v43
	v_lshlrev_b64 v[27:28], v27, 1
	v_bfi_b32 v20, v20, 0, 0
	v_bfi_b32 v19, v19, 0, v40
	v_cmp_eq_u64_e64 s[20:21], v[19:20], v[27:28]
	v_lshrrev_b64 v[19:20], v43, v[40:41]
	v_mov_b32_e32 v28, v20
	v_mov_b32_e32 v27, v19
	s_and_saveexec_b64 s[88:89], s[20:21]
; %bb.288:                              ;   in Loop: Header=BB0_108 Depth=3
	v_bfe_u32 v20, v19, 20, 1
	v_add_co_u32_e64 v20, s[20:21], v19, v20
	v_add_co_u32_e64 v27, s[20:21], -1, v20
; %bb.289:                              ;   in Loop: Header=BB0_108 Depth=3
	s_or_b64 exec, exec, s[88:89]
	v_add_u32_e32 v17, 0xffffff81, v17
	v_cndmask_b32_e32 v17, v17, v8, vcc
	v_lshrrev_b32_e32 v20, 23, v19
	v_add3_u32 v43, v43, v17, v20
	v_add_u32_e32 v28, 6, v43
	v_and_b32_e32 v17, 0xfffff, v27
	v_add_u32_e32 v40, v17, v19
	v_cmp_ne_u32_e32 vcc, 0, v28
                                        ; implicit-def: $vgpr19_vgpr20
                                        ; implicit-def: $vgpr17
	s_and_saveexec_b64 s[20:21], vcc
	s_xor_b64 s[20:21], exec, s[20:21]
; %bb.290:                              ;   in Loop: Header=BB0_108 Depth=3
	v_cmp_lt_u64_e32 vcc, s[60:61], v[40:41]
	v_add_u32_e32 v17, 7, v43
	v_cndmask_b32_e64 v19, 0, 1, vcc
	v_cndmask_b32_e32 v17, v28, v17, vcc
	v_lshrrev_b64 v[19:20], v19, v[40:41]
; %bb.291:                              ;   in Loop: Header=BB0_108 Depth=3
	s_andn2_saveexec_b64 s[20:21], s[20:21]
; %bb.292:                              ;   in Loop: Header=BB0_108 Depth=3
	v_mov_b32_e32 v19, v40
	v_bfe_u32 v17, v40, 23, 1
	v_mov_b32_e32 v20, v41
; %bb.293:                              ;   in Loop: Header=BB0_108 Depth=3
	s_or_b64 exec, exec, s[20:21]
	v_lshrrev_b64 v[19:20], 20, v[19:20]
	v_cmp_gt_i32_e32 vcc, 16, v17
	v_cndmask_b32_e32 v20, 0, v20, vcc
	v_cndmask_b32_e32 v19, 7, v19, vcc
	v_cmp_eq_u32_e32 vcc, 0, v17
	v_min_i32_e32 v17, 15, v17
	v_cmp_eq_u64_e64 s[20:21], 0, v[19:20]
	v_lshlrev_b32_e32 v17, 3, v17
	v_and_b32_e32 v17, 0xf8, v17
	v_and_or_b32 v17, v19, 7, v17
	s_and_b64 s[20:21], vcc, s[20:21]
	v_cndmask_b32_e64 v17, v17, 0, s[20:21]
	v_or_b32_e32 v43, v17, v0
.LBB0_294:                              ;   in Loop: Header=BB0_108 Depth=3
	s_or_b64 exec, exec, s[78:79]
                                        ; implicit-def: $vgpr0
.LBB0_295:                              ;   in Loop: Header=BB0_108 Depth=3
	s_andn2_saveexec_b64 s[20:21], s[76:77]
; %bb.296:                              ;   in Loop: Header=BB0_108 Depth=3
	v_or_b32_e32 v43, 0x7e, v0
; %bb.297:                              ;   in Loop: Header=BB0_108 Depth=3
	s_or_b64 exec, exec, s[20:21]
                                        ; implicit-def: $vgpr20
.LBB0_298:                              ;   in Loop: Header=BB0_108 Depth=3
	s_andn2_saveexec_b64 s[20:21], s[74:75]
; %bb.299:                              ;   in Loop: Header=BB0_108 Depth=3
	v_or_b32_sdwa v43, v20, s39 dst_sel:DWORD dst_unused:UNUSED_PAD src0_sel:BYTE_3 src1_sel:DWORD
; %bb.300:                              ;   in Loop: Header=BB0_108 Depth=3
	s_or_b64 exec, exec, s[20:21]
	v_alignbit_b32 v40, v44, v45, v22
	v_mov_b32_e32 v22, v41
	v_cmp_ne_u16_sdwa s[20:21], v21, v41 src0_sel:BYTE_0 src1_sel:DWORD
                                        ; implicit-def: $vgpr17
	s_and_saveexec_b64 s[74:75], s[14:15]
	s_xor_b64 s[74:75], exec, s[74:75]
	s_cbranch_execz .LBB0_314
; %bb.301:                              ;   in Loop: Header=BB0_108 Depth=3
	v_mov_b32_e32 v17, 0
	v_mov_b32_e32 v0, 0
	s_and_saveexec_b64 s[76:77], s[20:21]
	s_cbranch_execz .LBB0_307
; %bb.302:                              ;   in Loop: Header=BB0_108 Depth=3
	v_cmp_ne_u16_sdwa s[88:89], v21, s38 src0_sel:BYTE_0 src1_sel:DWORD
	v_bfrev_b32_e32 v0, 1
	s_and_saveexec_b64 s[78:79], s[88:89]
	s_cbranch_execz .LBB0_306
; %bb.303:                              ;   in Loop: Header=BB0_108 Depth=3
	v_and_b32_e32 v19, 0x7f, v21
	v_cmp_ne_u32_e32 vcc, s39, v19
	v_mov_b32_e32 v0, 0x7f800001
	s_and_saveexec_b64 s[88:89], vcc
	s_cbranch_execz .LBB0_305
; %bb.304:                              ;   in Loop: Header=BB0_108 Depth=3
	v_and_b32_e32 v0, 7, v21
	v_ffbh_u32_e32 v0, v0
	v_min_u32_e32 v0, 32, v0
	v_lshrrev_b32_e32 v20, 3, v19
	v_cmp_gt_u32_e32 vcc, 8, v19
	v_subrev_u32_e32 v19, 28, v0
	v_sub_u32_e32 v0, 29, v0
	v_cndmask_b32_e32 v19, 0, v19, vcc
	v_cndmask_b32_e32 v0, v20, v0, vcc
	v_lshlrev_b64 v[19:20], v19, v[21:22]
	v_lshlrev_b32_e32 v20, 24, v21
	v_lshlrev_b32_e32 v19, 20, v19
	v_and_b32_e32 v19, 0x700000, v19
	v_and_b32_e32 v20, 0x80000000, v20
	v_lshl_add_u32 v0, v0, 23, v26
	v_or3_b32 v0, v20, v0, v19
.LBB0_305:                              ;   in Loop: Header=BB0_108 Depth=3
	s_or_b64 exec, exec, s[88:89]
.LBB0_306:                              ;   in Loop: Header=BB0_108 Depth=3
	s_or_b64 exec, exec, s[78:79]
.LBB0_307:                              ;   in Loop: Header=BB0_108 Depth=3
	s_or_b64 exec, exec, s[76:77]
	v_cmp_ne_u16_sdwa s[78:79], v40, v41 src0_sel:BYTE_0 src1_sel:DWORD
	s_and_saveexec_b64 s[76:77], s[78:79]
	s_cbranch_execz .LBB0_313
; %bb.308:                              ;   in Loop: Header=BB0_108 Depth=3
	v_cmp_ne_u16_sdwa s[88:89], v40, s38 src0_sel:BYTE_0 src1_sel:DWORD
	v_bfrev_b32_e32 v17, 1
	s_and_saveexec_b64 s[78:79], s[88:89]
	s_cbranch_execz .LBB0_312
; %bb.309:                              ;   in Loop: Header=BB0_108 Depth=3
	v_and_b32_e32 v19, 0x7f, v40
	v_cmp_ne_u32_e32 vcc, s39, v19
	v_mov_b32_e32 v17, 0x7f800001
	s_and_saveexec_b64 s[88:89], vcc
	s_cbranch_execz .LBB0_311
; %bb.310:                              ;   in Loop: Header=BB0_108 Depth=3
	v_and_b32_e32 v17, 7, v40
	v_ffbh_u32_e32 v17, v17
	v_min_u32_e32 v17, 32, v17
	v_lshrrev_b32_e32 v20, 3, v19
	v_cmp_gt_u32_e32 vcc, 8, v19
	v_subrev_u32_e32 v19, 28, v17
	v_sub_u32_e32 v17, 29, v17
	v_cndmask_b32_e32 v19, 0, v19, vcc
	v_cndmask_b32_e32 v17, v20, v17, vcc
	v_lshlrev_b64 v[19:20], v19, v[40:41]
	v_lshlrev_b32_e32 v20, 24, v40
	v_lshlrev_b32_e32 v19, 20, v19
	v_and_b32_e32 v19, 0x700000, v19
	v_and_b32_e32 v20, 0x80000000, v20
	v_lshl_add_u32 v17, v17, 23, v26
	v_or3_b32 v17, v20, v17, v19
.LBB0_311:                              ;   in Loop: Header=BB0_108 Depth=3
	s_or_b64 exec, exec, s[88:89]
.LBB0_312:                              ;   in Loop: Header=BB0_108 Depth=3
	s_or_b64 exec, exec, s[78:79]
.LBB0_313:                              ;   in Loop: Header=BB0_108 Depth=3
	s_or_b64 exec, exec, s[76:77]
	v_max_f32_e32 v17, v17, v17
	v_max_f32_e32 v0, v0, v0
	;; [unrolled: 1-line block ×3, first 2 shown]
.LBB0_314:                              ;   in Loop: Header=BB0_108 Depth=3
	s_andn2_saveexec_b64 s[74:75], s[74:75]
	s_cbranch_execz .LBB0_328
; %bb.315:                              ;   in Loop: Header=BB0_108 Depth=3
	v_mov_b32_e32 v17, 0
	v_mov_b32_e32 v0, 0
	s_and_saveexec_b64 s[76:77], s[20:21]
	s_cbranch_execz .LBB0_321
; %bb.316:                              ;   in Loop: Header=BB0_108 Depth=3
	v_cmp_ne_u16_sdwa s[78:79], v21, s38 src0_sel:BYTE_0 src1_sel:DWORD
	v_bfrev_b32_e32 v0, 1
	s_and_saveexec_b64 s[20:21], s[78:79]
	s_cbranch_execz .LBB0_320
; %bb.317:                              ;   in Loop: Header=BB0_108 Depth=3
	v_and_b32_e32 v19, 0x7f, v21
	v_cmp_ne_u32_e32 vcc, s39, v19
	v_mov_b32_e32 v0, 0x7f800001
	s_and_saveexec_b64 s[78:79], vcc
	s_cbranch_execz .LBB0_319
; %bb.318:                              ;   in Loop: Header=BB0_108 Depth=3
	v_and_b32_e32 v0, 7, v21
	v_ffbh_u32_e32 v0, v0
	v_min_u32_e32 v0, 32, v0
	v_lshrrev_b32_e32 v20, 3, v19
	v_cmp_gt_u32_e32 vcc, 8, v19
	v_subrev_u32_e32 v19, 28, v0
	v_sub_u32_e32 v0, 29, v0
	v_cndmask_b32_e32 v19, 0, v19, vcc
	v_cndmask_b32_e32 v0, v20, v0, vcc
	v_lshlrev_b64 v[19:20], v19, v[21:22]
	v_lshlrev_b32_e32 v20, 24, v21
	v_lshlrev_b32_e32 v19, 20, v19
	v_and_b32_e32 v19, 0x700000, v19
	v_and_b32_e32 v20, 0x80000000, v20
	v_lshl_add_u32 v0, v0, 23, v26
	v_or3_b32 v0, v20, v0, v19
.LBB0_319:                              ;   in Loop: Header=BB0_108 Depth=3
	s_or_b64 exec, exec, s[78:79]
.LBB0_320:                              ;   in Loop: Header=BB0_108 Depth=3
	s_or_b64 exec, exec, s[20:21]
.LBB0_321:                              ;   in Loop: Header=BB0_108 Depth=3
	s_or_b64 exec, exec, s[76:77]
	v_cmp_ne_u16_sdwa s[76:77], v40, v41 src0_sel:BYTE_0 src1_sel:DWORD
	s_and_saveexec_b64 s[20:21], s[76:77]
	s_cbranch_execz .LBB0_327
; %bb.322:                              ;   in Loop: Header=BB0_108 Depth=3
	v_cmp_ne_u16_sdwa s[78:79], v40, s38 src0_sel:BYTE_0 src1_sel:DWORD
	v_bfrev_b32_e32 v17, 1
	s_and_saveexec_b64 s[76:77], s[78:79]
	s_cbranch_execz .LBB0_326
; %bb.323:                              ;   in Loop: Header=BB0_108 Depth=3
	v_and_b32_e32 v19, 0x7f, v40
	v_cmp_ne_u32_e32 vcc, s39, v19
	v_mov_b32_e32 v17, 0x7f800001
	s_and_saveexec_b64 s[78:79], vcc
	s_cbranch_execz .LBB0_325
; %bb.324:                              ;   in Loop: Header=BB0_108 Depth=3
	v_and_b32_e32 v17, 7, v40
	v_ffbh_u32_e32 v17, v17
	v_min_u32_e32 v17, 32, v17
	v_lshrrev_b32_e32 v20, 3, v19
	v_cmp_gt_u32_e32 vcc, 8, v19
	v_subrev_u32_e32 v19, 28, v17
	v_sub_u32_e32 v17, 29, v17
	v_cndmask_b32_e32 v19, 0, v19, vcc
	v_cndmask_b32_e32 v17, v20, v17, vcc
	v_lshlrev_b64 v[19:20], v19, v[40:41]
	v_lshlrev_b32_e32 v20, 24, v40
	v_lshlrev_b32_e32 v19, 20, v19
	v_and_b32_e32 v19, 0x700000, v19
	v_and_b32_e32 v20, 0x80000000, v20
	v_lshl_add_u32 v17, v17, 23, v26
	v_or3_b32 v17, v20, v17, v19
.LBB0_325:                              ;   in Loop: Header=BB0_108 Depth=3
	s_or_b64 exec, exec, s[78:79]
.LBB0_326:                              ;   in Loop: Header=BB0_108 Depth=3
	s_or_b64 exec, exec, s[76:77]
.LBB0_327:                              ;   in Loop: Header=BB0_108 Depth=3
	s_or_b64 exec, exec, s[20:21]
	v_max_f32_e32 v17, v17, v17
	v_max_f32_e32 v0, v0, v0
	v_min_f32_e32 v17, v0, v17
.LBB0_328:                              ;   in Loop: Header=BB0_108 Depth=3
	s_or_b64 exec, exec, s[74:75]
	v_and_b32_e32 v19, 0x7f800000, v17
	v_mov_b32_e32 v20, v41
	v_cmp_ne_u64_e32 vcc, s[56:57], v[19:20]
                                        ; implicit-def: $vgpr44
	s_and_saveexec_b64 s[20:21], vcc
	s_xor_b64 s[74:75], exec, s[20:21]
	s_cbranch_execz .LBB0_342
; %bb.329:                              ;   in Loop: Header=BB0_108 Depth=3
	v_and_b32_e32 v19, 0x7fffffff, v17
	v_mov_b32_e32 v20, v41
	v_cmp_gt_u64_e32 vcc, s[58:59], v[19:20]
	v_and_b32_sdwa v0, v17, s38 dst_sel:DWORD dst_unused:UNUSED_PAD src0_sel:BYTE_3 src1_sel:DWORD
                                        ; implicit-def: $vgpr44
	s_and_saveexec_b64 s[20:21], vcc
	s_xor_b64 s[76:77], exec, s[20:21]
	s_cbranch_execz .LBB0_339
; %bb.330:                              ;   in Loop: Header=BB0_108 Depth=3
	v_mov_b32_e32 v44, 0
	v_cmp_ne_u32_e32 vcc, 0, v17
	s_and_saveexec_b64 s[78:79], vcc
	s_cbranch_execz .LBB0_338
; %bb.331:                              ;   in Loop: Header=BB0_108 Depth=3
	v_and_b32_e32 v19, 0x7fffff, v17
	v_bfe_u32 v17, v17, 23, 8
	v_cmp_gt_u32_e64 s[20:21], s48, v17
	v_sub_u32_e32 v20, 0x79, v17
	v_cmp_eq_u32_e32 vcc, 0, v17
	v_cndmask_b32_e64 v20, 0, v20, s[20:21]
	v_or_b32_e32 v27, 0x800000, v19
	v_cndmask_b32_e32 v22, v20, v7, vcc
	v_cndmask_b32_e32 v19, v27, v19, vcc
	v_add_u32_e32 v27, 20, v22
	v_lshlrev_b64 v[27:28], v27, -1
	v_mov_b32_e32 v20, v41
	v_add_u32_e32 v44, 19, v22
	v_bfi_b32 v27, v27, 0, v19
	v_lshlrev_b64 v[44:45], v44, 1
	v_lshrrev_b64 v[19:20], v22, v[19:20]
	v_bfi_b32 v28, v28, 0, 0
	v_cmp_eq_u64_e64 s[20:21], v[27:28], v[44:45]
	v_mov_b32_e32 v28, v20
	v_mov_b32_e32 v27, v19
	s_and_saveexec_b64 s[88:89], s[20:21]
; %bb.332:                              ;   in Loop: Header=BB0_108 Depth=3
	v_bfe_u32 v20, v19, 20, 1
	v_add_co_u32_e64 v20, s[20:21], v19, v20
	v_add_co_u32_e64 v27, s[20:21], -1, v20
; %bb.333:                              ;   in Loop: Header=BB0_108 Depth=3
	s_or_b64 exec, exec, s[88:89]
	v_add_u32_e32 v17, 0xffffff81, v17
	v_cndmask_b32_e32 v17, v17, v8, vcc
	v_lshrrev_b32_e32 v20, 23, v19
	v_add3_u32 v28, v22, v17, v20
	v_add_u32_e32 v22, 6, v28
	v_and_b32_e32 v17, 0xfffff, v27
	v_add_u32_e32 v19, v17, v19
	v_mov_b32_e32 v20, v41
	v_cmp_ne_u32_e32 vcc, 0, v22
                                        ; implicit-def: $vgpr17
	s_and_saveexec_b64 s[20:21], vcc
	s_xor_b64 s[20:21], exec, s[20:21]
; %bb.334:                              ;   in Loop: Header=BB0_108 Depth=3
	v_cmp_lt_u64_e32 vcc, s[60:61], v[19:20]
	v_add_u32_e32 v17, 7, v28
	v_cndmask_b32_e32 v17, v22, v17, vcc
	v_cndmask_b32_e64 v22, 0, 1, vcc
	v_lshrrev_b64 v[19:20], v22, v[19:20]
; %bb.335:                              ;   in Loop: Header=BB0_108 Depth=3
	s_andn2_saveexec_b64 s[20:21], s[20:21]
; %bb.336:                              ;   in Loop: Header=BB0_108 Depth=3
	v_bfe_u32 v17, v19, 23, 1
; %bb.337:                              ;   in Loop: Header=BB0_108 Depth=3
	s_or_b64 exec, exec, s[20:21]
	v_lshrrev_b64 v[19:20], 20, v[19:20]
	v_cmp_gt_i32_e32 vcc, 16, v17
	v_cndmask_b32_e32 v20, 0, v20, vcc
	v_cndmask_b32_e32 v19, 7, v19, vcc
	v_cmp_eq_u32_e32 vcc, 0, v17
	v_min_i32_e32 v17, 15, v17
	v_cmp_eq_u64_e64 s[20:21], 0, v[19:20]
	v_lshlrev_b32_e32 v17, 3, v17
	v_and_b32_e32 v17, 0xf8, v17
	v_and_or_b32 v17, v19, 7, v17
	s_and_b64 s[20:21], vcc, s[20:21]
	v_cndmask_b32_e64 v17, v17, 0, s[20:21]
	v_or_b32_e32 v44, v17, v0
.LBB0_338:                              ;   in Loop: Header=BB0_108 Depth=3
	s_or_b64 exec, exec, s[78:79]
                                        ; implicit-def: $vgpr0
.LBB0_339:                              ;   in Loop: Header=BB0_108 Depth=3
	s_andn2_saveexec_b64 s[20:21], s[76:77]
; %bb.340:                              ;   in Loop: Header=BB0_108 Depth=3
	v_or_b32_e32 v44, 0x7e, v0
; %bb.341:                              ;   in Loop: Header=BB0_108 Depth=3
	s_or_b64 exec, exec, s[20:21]
                                        ; implicit-def: $vgpr17
.LBB0_342:                              ;   in Loop: Header=BB0_108 Depth=3
	s_andn2_saveexec_b64 s[20:21], s[74:75]
; %bb.343:                              ;   in Loop: Header=BB0_108 Depth=3
	v_or_b32_sdwa v44, v17, s39 dst_sel:DWORD dst_unused:UNUSED_PAD src0_sel:BYTE_3 src1_sel:DWORD
; %bb.344:                              ;   in Loop: Header=BB0_108 Depth=3
	s_or_b64 exec, exec, s[20:21]
	v_lshrrev_b16_e32 v17, 8, v21
	v_lshrrev_b16_e32 v0, 8, v40
	v_cmp_ne_u16_e32 vcc, 0, v17
                                        ; implicit-def: $vgpr19
	s_and_saveexec_b64 s[20:21], s[14:15]
	s_xor_b64 s[74:75], exec, s[20:21]
	s_cbranch_execz .LBB0_358
; %bb.345:                              ;   in Loop: Header=BB0_108 Depth=3
	v_mov_b32_e32 v20, 0
	v_mov_b32_e32 v19, 0
	s_and_saveexec_b64 s[76:77], vcc
	s_cbranch_execz .LBB0_351
; %bb.346:                              ;   in Loop: Header=BB0_108 Depth=3
	v_cmp_ne_u16_e64 s[20:21], s38, v17
	v_bfrev_b32_e32 v19, 1
	s_and_saveexec_b64 s[78:79], s[20:21]
	s_cbranch_execz .LBB0_350
; %bb.347:                              ;   in Loop: Header=BB0_108 Depth=3
	v_and_b32_e32 v22, 0x7f, v17
	v_cmp_ne_u32_e64 s[20:21], s39, v22
	v_mov_b32_e32 v19, 0x7f800001
	s_and_saveexec_b64 s[88:89], s[20:21]
	s_cbranch_execz .LBB0_349
; %bb.348:                              ;   in Loop: Header=BB0_108 Depth=3
	v_and_b32_e32 v19, 7, v17
	v_lshrrev_b32_e32 v45, 3, v22
	v_cmp_gt_u32_e64 s[20:21], 8, v22
	v_ffbh_u32_e32 v22, v19
	v_min_u32_e32 v22, 32, v22
	v_subrev_u32_e32 v27, 28, v22
	v_lshlrev_b64 v[27:28], v27, v[17:18]
	v_sub_u32_e32 v17, 29, v22
	v_and_b32_e32 v22, 7, v27
	v_cndmask_b32_e64 v17, v45, v17, s[20:21]
	v_cndmask_b32_e64 v19, v19, v22, s[20:21]
	v_lshlrev_b32_e32 v22, 16, v21
	v_lshlrev_b32_e32 v19, 20, v19
	v_and_b32_e32 v22, 0x80000000, v22
	v_lshl_add_u32 v17, v17, 23, v26
	v_or3_b32 v19, v22, v17, v19
.LBB0_349:                              ;   in Loop: Header=BB0_108 Depth=3
	s_or_b64 exec, exec, s[88:89]
.LBB0_350:                              ;   in Loop: Header=BB0_108 Depth=3
	s_or_b64 exec, exec, s[78:79]
.LBB0_351:                              ;   in Loop: Header=BB0_108 Depth=3
	s_or_b64 exec, exec, s[76:77]
	v_cmp_ne_u16_e64 s[20:21], 0, v0
	s_and_saveexec_b64 s[76:77], s[20:21]
	s_cbranch_execz .LBB0_357
; %bb.352:                              ;   in Loop: Header=BB0_108 Depth=3
	v_cmp_ne_u16_e64 s[20:21], s38, v0
	v_bfrev_b32_e32 v20, 1
	s_and_saveexec_b64 s[78:79], s[20:21]
	s_cbranch_execz .LBB0_356
; %bb.353:                              ;   in Loop: Header=BB0_108 Depth=3
	v_and_b32_e32 v17, 0x7f, v0
	v_cmp_ne_u32_e64 s[20:21], s39, v17
	v_mov_b32_e32 v20, 0x7f800001
	s_and_saveexec_b64 s[88:89], s[20:21]
	s_cbranch_execz .LBB0_355
; %bb.354:                              ;   in Loop: Header=BB0_108 Depth=3
	v_and_b32_e32 v20, 7, v0
	v_lshrrev_b32_e32 v22, 3, v17
	v_cmp_gt_u32_e64 s[20:21], 8, v17
	v_ffbh_u32_e32 v17, v20
	v_min_u32_e32 v17, 32, v17
	v_subrev_u32_e32 v27, 28, v17
	v_lshlrev_b64 v[27:28], v27, v[0:1]
	v_sub_u32_e32 v0, 29, v17
	v_and_b32_e32 v17, 7, v27
	v_cndmask_b32_e64 v0, v22, v0, s[20:21]
	v_cndmask_b32_e64 v17, v20, v17, s[20:21]
	v_lshlrev_b32_e32 v20, 16, v40
	v_lshlrev_b32_e32 v17, 20, v17
	v_and_b32_e32 v20, 0x80000000, v20
	v_lshl_add_u32 v0, v0, 23, v26
	v_or3_b32 v20, v20, v0, v17
.LBB0_355:                              ;   in Loop: Header=BB0_108 Depth=3
	s_or_b64 exec, exec, s[88:89]
.LBB0_356:                              ;   in Loop: Header=BB0_108 Depth=3
	s_or_b64 exec, exec, s[78:79]
.LBB0_357:                              ;   in Loop: Header=BB0_108 Depth=3
	s_or_b64 exec, exec, s[76:77]
	v_max_f32_e32 v0, v20, v20
	v_max_f32_e32 v17, v19, v19
	;; [unrolled: 1-line block ×3, first 2 shown]
                                        ; implicit-def: $vgpr0
                                        ; implicit-def: $vgpr17
.LBB0_358:                              ;   in Loop: Header=BB0_108 Depth=3
	s_andn2_saveexec_b64 s[20:21], s[74:75]
	s_cbranch_execz .LBB0_372
; %bb.359:                              ;   in Loop: Header=BB0_108 Depth=3
	v_mov_b32_e32 v20, 0
	v_mov_b32_e32 v19, 0
	s_and_saveexec_b64 s[74:75], vcc
	s_cbranch_execz .LBB0_365
; %bb.360:                              ;   in Loop: Header=BB0_108 Depth=3
	v_cmp_ne_u16_e32 vcc, s38, v17
	v_bfrev_b32_e32 v19, 1
	s_and_saveexec_b64 s[76:77], vcc
	s_cbranch_execz .LBB0_364
; %bb.361:                              ;   in Loop: Header=BB0_108 Depth=3
	v_and_b32_e32 v22, 0x7f, v17
	v_cmp_ne_u32_e32 vcc, s39, v22
	v_mov_b32_e32 v19, 0x7f800001
	s_and_saveexec_b64 s[78:79], vcc
	s_cbranch_execz .LBB0_363
; %bb.362:                              ;   in Loop: Header=BB0_108 Depth=3
	v_and_b32_e32 v19, 7, v17
	v_lshrrev_b32_e32 v45, 3, v22
	v_cmp_gt_u32_e32 vcc, 8, v22
	v_ffbh_u32_e32 v22, v19
	v_min_u32_e32 v22, 32, v22
	v_subrev_u32_e32 v27, 28, v22
	v_lshlrev_b64 v[27:28], v27, v[17:18]
	v_sub_u32_e32 v17, 29, v22
	v_and_b32_e32 v22, 7, v27
	v_cndmask_b32_e32 v17, v45, v17, vcc
	v_cndmask_b32_e32 v19, v19, v22, vcc
	v_lshlrev_b32_e32 v22, 16, v21
	v_lshlrev_b32_e32 v19, 20, v19
	v_and_b32_e32 v22, 0x80000000, v22
	v_lshl_add_u32 v17, v17, 23, v26
	v_or3_b32 v19, v22, v17, v19
.LBB0_363:                              ;   in Loop: Header=BB0_108 Depth=3
	s_or_b64 exec, exec, s[78:79]
.LBB0_364:                              ;   in Loop: Header=BB0_108 Depth=3
	s_or_b64 exec, exec, s[76:77]
.LBB0_365:                              ;   in Loop: Header=BB0_108 Depth=3
	s_or_b64 exec, exec, s[74:75]
	v_cmp_ne_u16_e32 vcc, 0, v0
	s_and_saveexec_b64 s[74:75], vcc
	s_cbranch_execz .LBB0_371
; %bb.366:                              ;   in Loop: Header=BB0_108 Depth=3
	v_cmp_ne_u16_e32 vcc, s38, v0
	v_bfrev_b32_e32 v20, 1
	s_and_saveexec_b64 s[76:77], vcc
	s_cbranch_execz .LBB0_370
; %bb.367:                              ;   in Loop: Header=BB0_108 Depth=3
	v_and_b32_e32 v17, 0x7f, v0
	v_cmp_ne_u32_e32 vcc, s39, v17
	v_mov_b32_e32 v20, 0x7f800001
	s_and_saveexec_b64 s[78:79], vcc
	s_cbranch_execz .LBB0_369
; %bb.368:                              ;   in Loop: Header=BB0_108 Depth=3
	v_and_b32_e32 v20, 7, v0
	v_lshrrev_b32_e32 v22, 3, v17
	v_cmp_gt_u32_e32 vcc, 8, v17
	v_ffbh_u32_e32 v17, v20
	v_min_u32_e32 v17, 32, v17
	v_subrev_u32_e32 v27, 28, v17
	v_lshlrev_b64 v[27:28], v27, v[0:1]
	v_sub_u32_e32 v0, 29, v17
	v_and_b32_e32 v17, 7, v27
	v_cndmask_b32_e32 v0, v22, v0, vcc
	v_cndmask_b32_e32 v17, v20, v17, vcc
	v_lshlrev_b32_e32 v20, 16, v40
	v_lshlrev_b32_e32 v17, 20, v17
	v_and_b32_e32 v20, 0x80000000, v20
	v_lshl_add_u32 v0, v0, 23, v26
	v_or3_b32 v20, v20, v0, v17
.LBB0_369:                              ;   in Loop: Header=BB0_108 Depth=3
	s_or_b64 exec, exec, s[78:79]
.LBB0_370:                              ;   in Loop: Header=BB0_108 Depth=3
	s_or_b64 exec, exec, s[76:77]
.LBB0_371:                              ;   in Loop: Header=BB0_108 Depth=3
	s_or_b64 exec, exec, s[74:75]
	v_max_f32_e32 v0, v20, v20
	v_max_f32_e32 v17, v19, v19
	v_min_f32_e32 v19, v17, v0
.LBB0_372:                              ;   in Loop: Header=BB0_108 Depth=3
	s_or_b64 exec, exec, s[20:21]
	v_and_b32_e32 v27, 0x7f800000, v19
	v_mov_b32_e32 v28, v41
	v_cmp_ne_u64_e32 vcc, s[56:57], v[27:28]
                                        ; implicit-def: $vgpr45
	s_and_saveexec_b64 s[20:21], vcc
	s_xor_b64 s[74:75], exec, s[20:21]
	s_cbranch_execz .LBB0_386
; %bb.373:                              ;   in Loop: Header=BB0_108 Depth=3
	v_and_b32_e32 v27, 0x7fffffff, v19
	v_mov_b32_e32 v28, v41
	v_cmp_gt_u64_e32 vcc, s[58:59], v[27:28]
	v_and_b32_sdwa v0, v19, s38 dst_sel:DWORD dst_unused:UNUSED_PAD src0_sel:BYTE_3 src1_sel:DWORD
                                        ; implicit-def: $vgpr45
	s_and_saveexec_b64 s[20:21], vcc
	s_xor_b64 s[76:77], exec, s[20:21]
	s_cbranch_execz .LBB0_383
; %bb.374:                              ;   in Loop: Header=BB0_108 Depth=3
	v_mov_b32_e32 v45, 0
	v_cmp_ne_u32_e32 vcc, 0, v19
	s_and_saveexec_b64 s[78:79], vcc
	s_cbranch_execz .LBB0_382
; %bb.375:                              ;   in Loop: Header=BB0_108 Depth=3
	v_bfe_u32 v17, v19, 23, 8
	v_and_b32_e32 v20, 0x7fffff, v19
	v_cmp_gt_u32_e64 s[20:21], s48, v17
	v_sub_u32_e32 v19, 0x79, v17
	v_cmp_eq_u32_e32 vcc, 0, v17
	v_cndmask_b32_e64 v19, 0, v19, s[20:21]
	v_or_b32_e32 v27, 0x800000, v20
	v_cndmask_b32_e32 v22, v19, v7, vcc
	v_cndmask_b32_e32 v19, v27, v20, vcc
	v_add_u32_e32 v27, 20, v22
	v_lshlrev_b64 v[27:28], v27, -1
	v_mov_b32_e32 v20, v41
	v_add_u32_e32 v45, 19, v22
	v_bfi_b32 v27, v27, 0, v19
	v_lshlrev_b64 v[56:57], v45, 1
	v_lshrrev_b64 v[19:20], v22, v[19:20]
	v_bfi_b32 v28, v28, 0, 0
	v_cmp_eq_u64_e64 s[20:21], v[27:28], v[56:57]
	v_mov_b32_e32 v28, v20
	v_mov_b32_e32 v27, v19
	s_and_saveexec_b64 s[88:89], s[20:21]
; %bb.376:                              ;   in Loop: Header=BB0_108 Depth=3
	v_bfe_u32 v20, v19, 20, 1
	v_add_co_u32_e64 v20, s[20:21], v19, v20
	v_add_co_u32_e64 v27, s[20:21], -1, v20
; %bb.377:                              ;   in Loop: Header=BB0_108 Depth=3
	s_or_b64 exec, exec, s[88:89]
	v_add_u32_e32 v17, 0xffffff81, v17
	v_cndmask_b32_e32 v17, v17, v8, vcc
	v_lshrrev_b32_e32 v20, 23, v19
	v_add3_u32 v28, v22, v17, v20
	v_add_u32_e32 v22, 6, v28
	v_and_b32_e32 v17, 0xfffff, v27
	v_add_u32_e32 v19, v17, v19
	v_mov_b32_e32 v20, v41
	v_cmp_ne_u32_e32 vcc, 0, v22
                                        ; implicit-def: $vgpr17
	s_and_saveexec_b64 s[20:21], vcc
	s_xor_b64 s[20:21], exec, s[20:21]
; %bb.378:                              ;   in Loop: Header=BB0_108 Depth=3
	v_cmp_lt_u64_e32 vcc, s[60:61], v[19:20]
	v_add_u32_e32 v17, 7, v28
	v_cndmask_b32_e32 v17, v22, v17, vcc
	v_cndmask_b32_e64 v22, 0, 1, vcc
	v_lshrrev_b64 v[19:20], v22, v[19:20]
; %bb.379:                              ;   in Loop: Header=BB0_108 Depth=3
	s_andn2_saveexec_b64 s[20:21], s[20:21]
; %bb.380:                              ;   in Loop: Header=BB0_108 Depth=3
	v_bfe_u32 v17, v19, 23, 1
; %bb.381:                              ;   in Loop: Header=BB0_108 Depth=3
	s_or_b64 exec, exec, s[20:21]
	v_lshrrev_b64 v[19:20], 20, v[19:20]
	v_cmp_gt_i32_e32 vcc, 16, v17
	v_cndmask_b32_e32 v20, 0, v20, vcc
	v_cndmask_b32_e32 v19, 7, v19, vcc
	v_cmp_eq_u32_e32 vcc, 0, v17
	v_min_i32_e32 v17, 15, v17
	v_cmp_eq_u64_e64 s[20:21], 0, v[19:20]
	v_lshlrev_b32_e32 v17, 3, v17
	v_and_b32_e32 v17, 0xf8, v17
	v_and_or_b32 v17, v19, 7, v17
	s_and_b64 s[20:21], vcc, s[20:21]
	v_cndmask_b32_e64 v17, v17, 0, s[20:21]
	v_or_b32_e32 v45, v17, v0
.LBB0_382:                              ;   in Loop: Header=BB0_108 Depth=3
	s_or_b64 exec, exec, s[78:79]
                                        ; implicit-def: $vgpr0
.LBB0_383:                              ;   in Loop: Header=BB0_108 Depth=3
	s_andn2_saveexec_b64 s[20:21], s[76:77]
; %bb.384:                              ;   in Loop: Header=BB0_108 Depth=3
	v_or_b32_e32 v45, 0x7e, v0
; %bb.385:                              ;   in Loop: Header=BB0_108 Depth=3
	s_or_b64 exec, exec, s[20:21]
                                        ; implicit-def: $vgpr19
.LBB0_386:                              ;   in Loop: Header=BB0_108 Depth=3
	s_andn2_saveexec_b64 s[20:21], s[74:75]
; %bb.387:                              ;   in Loop: Header=BB0_108 Depth=3
	v_or_b32_sdwa v45, v19, s39 dst_sel:DWORD dst_unused:UNUSED_PAD src0_sel:BYTE_3 src1_sel:DWORD
; %bb.388:                              ;   in Loop: Header=BB0_108 Depth=3
	s_or_b64 exec, exec, s[20:21]
	v_lshrrev_b32_e32 v17, 16, v21
	v_lshrrev_b32_e32 v0, 16, v40
	v_cmp_ne_u16_sdwa s[20:21], v17, v41 src0_sel:BYTE_0 src1_sel:DWORD
                                        ; implicit-def: $vgpr19
	s_and_saveexec_b64 s[74:75], s[14:15]
	s_xor_b64 s[74:75], exec, s[74:75]
	s_cbranch_execz .LBB0_402
; %bb.389:                              ;   in Loop: Header=BB0_108 Depth=3
	v_mov_b32_e32 v20, 0
	v_mov_b32_e32 v19, 0
	s_and_saveexec_b64 s[76:77], s[20:21]
	s_cbranch_execz .LBB0_395
; %bb.390:                              ;   in Loop: Header=BB0_108 Depth=3
	v_cmp_ne_u16_sdwa s[88:89], v17, s38 src0_sel:BYTE_0 src1_sel:DWORD
	v_bfrev_b32_e32 v19, 1
	s_and_saveexec_b64 s[78:79], s[88:89]
	s_cbranch_execz .LBB0_394
; %bb.391:                              ;   in Loop: Header=BB0_108 Depth=3
	v_bfe_u32 v22, v21, 16, 7
	v_cmp_ne_u32_e32 vcc, s39, v22
	v_mov_b32_e32 v19, 0x7f800001
	s_and_saveexec_b64 s[88:89], vcc
	s_cbranch_execz .LBB0_393
; %bb.392:                              ;   in Loop: Header=BB0_108 Depth=3
	v_and_b32_e32 v19, 7, v17
	v_lshrrev_b32_e32 v56, 3, v22
	v_cmp_gt_u32_e32 vcc, 8, v22
	v_ffbh_u32_e32 v22, v19
	v_min_u32_e32 v22, 32, v22
	v_subrev_u32_e32 v27, 28, v22
	v_lshlrev_b64 v[27:28], v27, v[17:18]
	v_sub_u32_e32 v22, 29, v22
	v_and_b32_e32 v27, 7, v27
	v_cndmask_b32_e32 v22, v56, v22, vcc
	v_cndmask_b32_e32 v19, v19, v27, vcc
	v_lshlrev_b32_e32 v17, 24, v17
	v_lshlrev_b32_e32 v19, 20, v19
	v_and_b32_e32 v17, 0x80000000, v17
	v_lshl_add_u32 v22, v22, 23, v26
	v_or3_b32 v19, v17, v22, v19
.LBB0_393:                              ;   in Loop: Header=BB0_108 Depth=3
	s_or_b64 exec, exec, s[88:89]
.LBB0_394:                              ;   in Loop: Header=BB0_108 Depth=3
	s_or_b64 exec, exec, s[78:79]
.LBB0_395:                              ;   in Loop: Header=BB0_108 Depth=3
	s_or_b64 exec, exec, s[76:77]
	v_and_b32_sdwa v17, v40, s37 dst_sel:DWORD dst_unused:UNUSED_PAD src0_sel:WORD_1 src1_sel:DWORD
	v_cmp_ne_u16_e32 vcc, 0, v17
	s_and_saveexec_b64 s[76:77], vcc
	s_cbranch_execz .LBB0_401
; %bb.396:                              ;   in Loop: Header=BB0_108 Depth=3
	v_cmp_ne_u16_e32 vcc, s38, v17
	v_bfrev_b32_e32 v20, 1
	s_and_saveexec_b64 s[78:79], vcc
	s_cbranch_execz .LBB0_400
; %bb.397:                              ;   in Loop: Header=BB0_108 Depth=3
	v_bfe_u32 v17, v40, 16, 7
	v_cmp_ne_u32_e32 vcc, s39, v17
	v_mov_b32_e32 v20, 0x7f800001
	s_and_saveexec_b64 s[88:89], vcc
	s_cbranch_execz .LBB0_399
; %bb.398:                              ;   in Loop: Header=BB0_108 Depth=3
	v_and_b32_e32 v20, 7, v0
	v_lshrrev_b32_e32 v22, 3, v17
	v_cmp_gt_u32_e32 vcc, 8, v17
	v_ffbh_u32_e32 v17, v20
	v_min_u32_e32 v17, 32, v17
	v_subrev_u32_e32 v27, 28, v17
	v_lshlrev_b64 v[27:28], v27, v[0:1]
	v_sub_u32_e32 v0, 29, v17
	v_and_b32_e32 v17, 7, v27
	v_cndmask_b32_e32 v0, v22, v0, vcc
	v_cndmask_b32_e32 v17, v20, v17, vcc
	v_lshlrev_b32_sdwa v20, v54, v40 dst_sel:DWORD dst_unused:UNUSED_PAD src0_sel:DWORD src1_sel:WORD_1
	v_lshlrev_b32_e32 v17, 20, v17
	v_and_b32_e32 v20, 0x80000000, v20
	v_lshl_add_u32 v0, v0, 23, v26
	v_or3_b32 v20, v20, v0, v17
.LBB0_399:                              ;   in Loop: Header=BB0_108 Depth=3
	s_or_b64 exec, exec, s[88:89]
.LBB0_400:                              ;   in Loop: Header=BB0_108 Depth=3
	s_or_b64 exec, exec, s[78:79]
.LBB0_401:                              ;   in Loop: Header=BB0_108 Depth=3
	s_or_b64 exec, exec, s[76:77]
	v_max_f32_e32 v0, v20, v20
	v_max_f32_e32 v17, v19, v19
	;; [unrolled: 1-line block ×3, first 2 shown]
                                        ; implicit-def: $vgpr17
                                        ; implicit-def: $vgpr0
.LBB0_402:                              ;   in Loop: Header=BB0_108 Depth=3
	s_andn2_saveexec_b64 s[74:75], s[74:75]
	s_cbranch_execz .LBB0_416
; %bb.403:                              ;   in Loop: Header=BB0_108 Depth=3
	v_mov_b32_e32 v20, 0
	v_mov_b32_e32 v19, 0
	s_and_saveexec_b64 s[76:77], s[20:21]
	s_cbranch_execz .LBB0_409
; %bb.404:                              ;   in Loop: Header=BB0_108 Depth=3
	v_cmp_ne_u16_sdwa s[78:79], v17, s38 src0_sel:BYTE_0 src1_sel:DWORD
	v_bfrev_b32_e32 v19, 1
	s_and_saveexec_b64 s[20:21], s[78:79]
	s_cbranch_execz .LBB0_408
; %bb.405:                              ;   in Loop: Header=BB0_108 Depth=3
	v_bfe_u32 v22, v21, 16, 7
	v_cmp_ne_u32_e32 vcc, s39, v22
	v_mov_b32_e32 v19, 0x7f800001
	s_and_saveexec_b64 s[78:79], vcc
	s_cbranch_execz .LBB0_407
; %bb.406:                              ;   in Loop: Header=BB0_108 Depth=3
	v_and_b32_e32 v19, 7, v17
	v_lshrrev_b32_e32 v56, 3, v22
	v_cmp_gt_u32_e32 vcc, 8, v22
	v_ffbh_u32_e32 v22, v19
	v_min_u32_e32 v22, 32, v22
	v_subrev_u32_e32 v27, 28, v22
	v_lshlrev_b64 v[27:28], v27, v[17:18]
	v_sub_u32_e32 v22, 29, v22
	v_and_b32_e32 v27, 7, v27
	v_cndmask_b32_e32 v22, v56, v22, vcc
	v_cndmask_b32_e32 v19, v19, v27, vcc
	v_lshlrev_b32_e32 v17, 24, v17
	v_lshlrev_b32_e32 v19, 20, v19
	v_and_b32_e32 v17, 0x80000000, v17
	v_lshl_add_u32 v22, v22, 23, v26
	v_or3_b32 v19, v17, v22, v19
.LBB0_407:                              ;   in Loop: Header=BB0_108 Depth=3
	s_or_b64 exec, exec, s[78:79]
.LBB0_408:                              ;   in Loop: Header=BB0_108 Depth=3
	s_or_b64 exec, exec, s[20:21]
.LBB0_409:                              ;   in Loop: Header=BB0_108 Depth=3
	s_or_b64 exec, exec, s[76:77]
	v_and_b32_sdwa v17, v40, s37 dst_sel:DWORD dst_unused:UNUSED_PAD src0_sel:WORD_1 src1_sel:DWORD
	v_cmp_ne_u16_e32 vcc, 0, v17
	s_and_saveexec_b64 s[20:21], vcc
	s_cbranch_execz .LBB0_415
; %bb.410:                              ;   in Loop: Header=BB0_108 Depth=3
	v_cmp_ne_u16_e32 vcc, s38, v17
	v_bfrev_b32_e32 v20, 1
	s_and_saveexec_b64 s[76:77], vcc
	s_cbranch_execz .LBB0_414
; %bb.411:                              ;   in Loop: Header=BB0_108 Depth=3
	v_bfe_u32 v17, v40, 16, 7
	v_cmp_ne_u32_e32 vcc, s39, v17
	v_mov_b32_e32 v20, 0x7f800001
	s_and_saveexec_b64 s[78:79], vcc
	s_cbranch_execz .LBB0_413
; %bb.412:                              ;   in Loop: Header=BB0_108 Depth=3
	v_and_b32_e32 v20, 7, v0
	v_lshrrev_b32_e32 v22, 3, v17
	v_cmp_gt_u32_e32 vcc, 8, v17
	v_ffbh_u32_e32 v17, v20
	v_min_u32_e32 v17, 32, v17
	v_subrev_u32_e32 v27, 28, v17
	v_lshlrev_b64 v[27:28], v27, v[0:1]
	v_sub_u32_e32 v0, 29, v17
	v_and_b32_e32 v17, 7, v27
	v_cndmask_b32_e32 v0, v22, v0, vcc
	v_cndmask_b32_e32 v17, v20, v17, vcc
	v_lshlrev_b32_sdwa v20, v54, v40 dst_sel:DWORD dst_unused:UNUSED_PAD src0_sel:DWORD src1_sel:WORD_1
	v_lshlrev_b32_e32 v17, 20, v17
	v_and_b32_e32 v20, 0x80000000, v20
	v_lshl_add_u32 v0, v0, 23, v26
	v_or3_b32 v20, v20, v0, v17
.LBB0_413:                              ;   in Loop: Header=BB0_108 Depth=3
	s_or_b64 exec, exec, s[78:79]
.LBB0_414:                              ;   in Loop: Header=BB0_108 Depth=3
	s_or_b64 exec, exec, s[76:77]
.LBB0_415:                              ;   in Loop: Header=BB0_108 Depth=3
	s_or_b64 exec, exec, s[20:21]
	v_max_f32_e32 v0, v20, v20
	v_max_f32_e32 v17, v19, v19
	v_min_f32_e32 v19, v17, v0
.LBB0_416:                              ;   in Loop: Header=BB0_108 Depth=3
	s_or_b64 exec, exec, s[74:75]
	v_and_b32_e32 v27, 0x7f800000, v19
	v_mov_b32_e32 v28, v41
	v_cmp_ne_u64_e32 vcc, s[56:57], v[27:28]
                                        ; implicit-def: $vgpr27
	s_and_saveexec_b64 s[20:21], vcc
	s_xor_b64 s[74:75], exec, s[20:21]
	s_cbranch_execz .LBB0_430
; %bb.417:                              ;   in Loop: Header=BB0_108 Depth=3
	v_and_b32_e32 v27, 0x7fffffff, v19
	v_mov_b32_e32 v28, v41
	v_cmp_gt_u64_e32 vcc, s[58:59], v[27:28]
	v_and_b32_sdwa v0, v19, s38 dst_sel:DWORD dst_unused:UNUSED_PAD src0_sel:BYTE_3 src1_sel:DWORD
                                        ; implicit-def: $vgpr27
	s_and_saveexec_b64 s[20:21], vcc
	s_xor_b64 s[76:77], exec, s[20:21]
	s_cbranch_execz .LBB0_427
; %bb.418:                              ;   in Loop: Header=BB0_108 Depth=3
	v_mov_b32_e32 v27, 0
	v_cmp_ne_u32_e32 vcc, 0, v19
	s_and_saveexec_b64 s[78:79], vcc
	s_cbranch_execz .LBB0_426
; %bb.419:                              ;   in Loop: Header=BB0_108 Depth=3
	v_bfe_u32 v17, v19, 23, 8
	v_and_b32_e32 v20, 0x7fffff, v19
	v_cmp_gt_u32_e64 s[20:21], s48, v17
	v_sub_u32_e32 v19, 0x79, v17
	v_cmp_eq_u32_e32 vcc, 0, v17
	v_cndmask_b32_e64 v19, 0, v19, s[20:21]
	v_or_b32_e32 v27, 0x800000, v20
	v_cndmask_b32_e32 v22, v19, v7, vcc
	v_cndmask_b32_e32 v19, v27, v20, vcc
	v_add_u32_e32 v27, 20, v22
	v_lshlrev_b64 v[27:28], v27, -1
	v_mov_b32_e32 v20, v41
	v_add_u32_e32 v56, 19, v22
	v_bfi_b32 v27, v27, 0, v19
	v_lshlrev_b64 v[56:57], v56, 1
	v_lshrrev_b64 v[19:20], v22, v[19:20]
	v_bfi_b32 v28, v28, 0, 0
	v_cmp_eq_u64_e64 s[20:21], v[27:28], v[56:57]
	v_mov_b32_e32 v28, v20
	v_mov_b32_e32 v27, v19
	s_and_saveexec_b64 s[88:89], s[20:21]
; %bb.420:                              ;   in Loop: Header=BB0_108 Depth=3
	v_bfe_u32 v20, v19, 20, 1
	v_add_co_u32_e64 v20, s[20:21], v19, v20
	v_add_co_u32_e64 v27, s[20:21], -1, v20
; %bb.421:                              ;   in Loop: Header=BB0_108 Depth=3
	s_or_b64 exec, exec, s[88:89]
	v_add_u32_e32 v17, 0xffffff81, v17
	v_cndmask_b32_e32 v17, v17, v8, vcc
	v_lshrrev_b32_e32 v20, 23, v19
	v_add3_u32 v28, v22, v17, v20
	v_add_u32_e32 v22, 6, v28
	v_and_b32_e32 v17, 0xfffff, v27
	v_add_u32_e32 v19, v17, v19
	v_mov_b32_e32 v20, v41
	v_cmp_ne_u32_e32 vcc, 0, v22
                                        ; implicit-def: $vgpr17
	s_and_saveexec_b64 s[20:21], vcc
	s_xor_b64 s[20:21], exec, s[20:21]
; %bb.422:                              ;   in Loop: Header=BB0_108 Depth=3
	v_cmp_lt_u64_e32 vcc, s[60:61], v[19:20]
	v_add_u32_e32 v17, 7, v28
	v_cndmask_b32_e32 v17, v22, v17, vcc
	v_cndmask_b32_e64 v22, 0, 1, vcc
	v_lshrrev_b64 v[19:20], v22, v[19:20]
; %bb.423:                              ;   in Loop: Header=BB0_108 Depth=3
	s_andn2_saveexec_b64 s[20:21], s[20:21]
; %bb.424:                              ;   in Loop: Header=BB0_108 Depth=3
	v_bfe_u32 v17, v19, 23, 1
; %bb.425:                              ;   in Loop: Header=BB0_108 Depth=3
	s_or_b64 exec, exec, s[20:21]
	v_lshrrev_b64 v[19:20], 20, v[19:20]
	v_cmp_gt_i32_e32 vcc, 16, v17
	v_cndmask_b32_e32 v20, 0, v20, vcc
	v_cndmask_b32_e32 v19, 7, v19, vcc
	v_cmp_eq_u32_e32 vcc, 0, v17
	v_min_i32_e32 v17, 15, v17
	v_cmp_eq_u64_e64 s[20:21], 0, v[19:20]
	v_lshlrev_b32_e32 v17, 3, v17
	v_and_b32_e32 v17, 0xf8, v17
	v_and_or_b32 v17, v19, 7, v17
	s_and_b64 s[20:21], vcc, s[20:21]
	v_cndmask_b32_e64 v17, v17, 0, s[20:21]
	v_or_b32_e32 v27, v17, v0
.LBB0_426:                              ;   in Loop: Header=BB0_108 Depth=3
	s_or_b64 exec, exec, s[78:79]
                                        ; implicit-def: $vgpr0
.LBB0_427:                              ;   in Loop: Header=BB0_108 Depth=3
	s_andn2_saveexec_b64 s[20:21], s[76:77]
; %bb.428:                              ;   in Loop: Header=BB0_108 Depth=3
	v_or_b32_e32 v27, 0x7e, v0
; %bb.429:                              ;   in Loop: Header=BB0_108 Depth=3
	s_or_b64 exec, exec, s[20:21]
                                        ; implicit-def: $vgpr19
.LBB0_430:                              ;   in Loop: Header=BB0_108 Depth=3
	s_andn2_saveexec_b64 s[20:21], s[74:75]
; %bb.431:                              ;   in Loop: Header=BB0_108 Depth=3
	v_or_b32_sdwa v27, v19, s39 dst_sel:DWORD dst_unused:UNUSED_PAD src0_sel:BYTE_3 src1_sel:DWORD
; %bb.432:                              ;   in Loop: Header=BB0_108 Depth=3
	s_or_b64 exec, exec, s[20:21]
	v_and_b32_e32 v19, 0xff000000, v21
	v_mov_b32_e32 v20, v41
	v_cmp_ne_u64_e32 vcc, 0, v[19:20]
	v_lshrrev_b32_e32 v17, 24, v21
	v_lshrrev_b32_e32 v0, 24, v40
                                        ; implicit-def: $vgpr19
	s_and_saveexec_b64 s[20:21], s[14:15]
	s_xor_b64 s[74:75], exec, s[20:21]
	s_cbranch_execz .LBB0_446
; %bb.433:                              ;   in Loop: Header=BB0_108 Depth=3
	v_mov_b32_e32 v20, 0
	v_mov_b32_e32 v19, 0
	s_and_saveexec_b64 s[76:77], vcc
	s_cbranch_execz .LBB0_439
; %bb.434:                              ;   in Loop: Header=BB0_108 Depth=3
	v_cmp_ne_u32_e64 s[20:21], s38, v17
	v_bfrev_b32_e32 v19, 1
	s_and_saveexec_b64 s[78:79], s[20:21]
	s_cbranch_execz .LBB0_438
; %bb.435:                              ;   in Loop: Header=BB0_108 Depth=3
	v_bfe_u32 v21, v21, 24, 7
	v_cmp_ne_u32_e64 s[20:21], s39, v21
	v_mov_b32_e32 v19, 0x7f800001
	s_and_saveexec_b64 s[88:89], s[20:21]
	s_cbranch_execz .LBB0_437
; %bb.436:                              ;   in Loop: Header=BB0_108 Depth=3
	v_and_b32_e32 v19, 7, v17
	v_lshrrev_b32_e32 v28, 3, v21
	v_cmp_gt_u32_e64 s[20:21], 8, v21
	v_ffbh_u32_e32 v21, v19
	v_min_u32_e32 v56, 32, v21
	v_subrev_u32_e32 v21, 28, v56
	v_lshlrev_b64 v[21:22], v21, v[17:18]
	v_sub_u32_e32 v22, 29, v56
	v_and_b32_e32 v21, 7, v21
	v_cndmask_b32_e64 v22, v28, v22, s[20:21]
	v_cndmask_b32_e64 v19, v19, v21, s[20:21]
	v_lshlrev_b32_e32 v17, 24, v17
	v_lshlrev_b32_e32 v19, 20, v19
	v_and_b32_e32 v17, 0x80000000, v17
	v_lshl_add_u32 v21, v22, 23, v26
	v_or3_b32 v19, v17, v21, v19
.LBB0_437:                              ;   in Loop: Header=BB0_108 Depth=3
	s_or_b64 exec, exec, s[88:89]
.LBB0_438:                              ;   in Loop: Header=BB0_108 Depth=3
	s_or_b64 exec, exec, s[78:79]
.LBB0_439:                              ;   in Loop: Header=BB0_108 Depth=3
	s_or_b64 exec, exec, s[76:77]
	v_cmp_lt_u32_e64 s[20:21], s49, v40
	s_and_saveexec_b64 s[76:77], s[20:21]
	s_cbranch_execz .LBB0_445
; %bb.440:                              ;   in Loop: Header=BB0_108 Depth=3
	v_cmp_ne_u32_sdwa s[20:21], v40, s38 src0_sel:BYTE_3 src1_sel:DWORD
	v_bfrev_b32_e32 v20, 1
	s_and_saveexec_b64 s[78:79], s[20:21]
	s_cbranch_execz .LBB0_444
; %bb.441:                              ;   in Loop: Header=BB0_108 Depth=3
	v_bfe_u32 v17, v40, 24, 7
	v_cmp_ne_u32_e64 s[20:21], s39, v17
	v_mov_b32_e32 v20, 0x7f800001
	s_and_saveexec_b64 s[88:89], s[20:21]
	s_cbranch_execz .LBB0_443
; %bb.442:                              ;   in Loop: Header=BB0_108 Depth=3
	v_and_b32_e32 v22, 7, v0
	v_lshrrev_b32_e32 v28, 3, v17
	v_cmp_gt_u32_e64 s[20:21], 8, v17
	v_ffbh_u32_e32 v17, v22
	v_min_u32_e32 v17, 32, v17
	v_subrev_u32_e32 v20, 28, v17
	v_lshlrev_b64 v[20:21], v20, v[0:1]
	v_sub_u32_e32 v0, 29, v17
	v_and_b32_e32 v17, 7, v20
	v_cndmask_b32_e64 v0, v28, v0, s[20:21]
	v_cndmask_b32_e64 v17, v22, v17, s[20:21]
	v_lshlrev_b32_sdwa v20, v54, v40 dst_sel:DWORD dst_unused:UNUSED_PAD src0_sel:DWORD src1_sel:BYTE_3
	v_lshlrev_b32_e32 v17, 20, v17
	v_and_b32_e32 v20, 0x80000000, v20
	v_lshl_add_u32 v0, v0, 23, v26
	v_or3_b32 v20, v20, v0, v17
.LBB0_443:                              ;   in Loop: Header=BB0_108 Depth=3
	s_or_b64 exec, exec, s[88:89]
.LBB0_444:                              ;   in Loop: Header=BB0_108 Depth=3
	s_or_b64 exec, exec, s[78:79]
.LBB0_445:                              ;   in Loop: Header=BB0_108 Depth=3
	s_or_b64 exec, exec, s[76:77]
	v_max_f32_e32 v0, v20, v20
	v_max_f32_e32 v17, v19, v19
	;; [unrolled: 1-line block ×3, first 2 shown]
                                        ; implicit-def: $vgpr17
                                        ; implicit-def: $vgpr0
                                        ; implicit-def: $vgpr21_vgpr22
.LBB0_446:                              ;   in Loop: Header=BB0_108 Depth=3
	s_andn2_saveexec_b64 s[20:21], s[74:75]
	s_cbranch_execz .LBB0_460
; %bb.447:                              ;   in Loop: Header=BB0_108 Depth=3
	v_mov_b32_e32 v20, 0
	v_mov_b32_e32 v19, 0
	s_and_saveexec_b64 s[74:75], vcc
	s_cbranch_execz .LBB0_453
; %bb.448:                              ;   in Loop: Header=BB0_108 Depth=3
	v_cmp_ne_u32_e32 vcc, s38, v17
	v_bfrev_b32_e32 v19, 1
	s_and_saveexec_b64 s[76:77], vcc
	s_cbranch_execz .LBB0_452
; %bb.449:                              ;   in Loop: Header=BB0_108 Depth=3
	v_bfe_u32 v21, v21, 24, 7
	v_cmp_ne_u32_e32 vcc, s39, v21
	v_mov_b32_e32 v19, 0x7f800001
	s_and_saveexec_b64 s[78:79], vcc
	s_cbranch_execz .LBB0_451
; %bb.450:                              ;   in Loop: Header=BB0_108 Depth=3
	v_and_b32_e32 v19, 7, v17
	v_lshrrev_b32_e32 v28, 3, v21
	v_cmp_gt_u32_e32 vcc, 8, v21
	v_ffbh_u32_e32 v21, v19
	v_min_u32_e32 v56, 32, v21
	v_subrev_u32_e32 v21, 28, v56
	v_lshlrev_b64 v[21:22], v21, v[17:18]
	v_sub_u32_e32 v22, 29, v56
	v_and_b32_e32 v21, 7, v21
	v_cndmask_b32_e32 v22, v28, v22, vcc
	v_cndmask_b32_e32 v19, v19, v21, vcc
	v_lshlrev_b32_e32 v17, 24, v17
	v_lshlrev_b32_e32 v19, 20, v19
	v_and_b32_e32 v17, 0x80000000, v17
	v_lshl_add_u32 v21, v22, 23, v26
	v_or3_b32 v19, v17, v21, v19
.LBB0_451:                              ;   in Loop: Header=BB0_108 Depth=3
	s_or_b64 exec, exec, s[78:79]
.LBB0_452:                              ;   in Loop: Header=BB0_108 Depth=3
	s_or_b64 exec, exec, s[76:77]
.LBB0_453:                              ;   in Loop: Header=BB0_108 Depth=3
	s_or_b64 exec, exec, s[74:75]
	v_cmp_lt_u32_e32 vcc, s49, v40
	s_and_saveexec_b64 s[74:75], vcc
	s_cbranch_execz .LBB0_459
; %bb.454:                              ;   in Loop: Header=BB0_108 Depth=3
	v_cmp_ne_u32_sdwa s[78:79], v40, s38 src0_sel:BYTE_3 src1_sel:DWORD
	v_bfrev_b32_e32 v20, 1
	s_and_saveexec_b64 s[76:77], s[78:79]
	s_cbranch_execz .LBB0_458
; %bb.455:                              ;   in Loop: Header=BB0_108 Depth=3
	v_bfe_u32 v17, v40, 24, 7
	v_cmp_ne_u32_e32 vcc, s39, v17
	v_mov_b32_e32 v20, 0x7f800001
	s_and_saveexec_b64 s[78:79], vcc
	s_cbranch_execz .LBB0_457
; %bb.456:                              ;   in Loop: Header=BB0_108 Depth=3
	v_and_b32_e32 v22, 7, v0
	v_lshrrev_b32_e32 v28, 3, v17
	v_cmp_gt_u32_e32 vcc, 8, v17
	v_ffbh_u32_e32 v17, v22
	v_min_u32_e32 v17, 32, v17
	v_subrev_u32_e32 v20, 28, v17
	v_lshlrev_b64 v[20:21], v20, v[0:1]
	v_sub_u32_e32 v0, 29, v17
	v_and_b32_e32 v17, 7, v20
	v_cndmask_b32_e32 v0, v28, v0, vcc
	v_cndmask_b32_e32 v17, v22, v17, vcc
	v_lshlrev_b32_sdwa v20, v54, v40 dst_sel:DWORD dst_unused:UNUSED_PAD src0_sel:DWORD src1_sel:BYTE_3
	v_lshlrev_b32_e32 v17, 20, v17
	v_and_b32_e32 v20, 0x80000000, v20
	v_lshl_add_u32 v0, v0, 23, v26
	v_or3_b32 v20, v20, v0, v17
.LBB0_457:                              ;   in Loop: Header=BB0_108 Depth=3
	s_or_b64 exec, exec, s[78:79]
.LBB0_458:                              ;   in Loop: Header=BB0_108 Depth=3
	s_or_b64 exec, exec, s[76:77]
.LBB0_459:                              ;   in Loop: Header=BB0_108 Depth=3
	s_or_b64 exec, exec, s[74:75]
	v_max_f32_e32 v0, v20, v20
	v_max_f32_e32 v17, v19, v19
	v_min_f32_e32 v19, v17, v0
.LBB0_460:                              ;   in Loop: Header=BB0_108 Depth=3
	s_or_b64 exec, exec, s[20:21]
	v_and_b32_e32 v40, 0x7f800000, v19
	v_cmp_ne_u64_e32 vcc, s[56:57], v[40:41]
                                        ; implicit-def: $vgpr17
	s_and_saveexec_b64 s[20:21], vcc
	s_xor_b64 s[74:75], exec, s[20:21]
	s_cbranch_execz .LBB0_474
; %bb.461:                              ;   in Loop: Header=BB0_108 Depth=3
	v_and_b32_e32 v40, 0x7fffffff, v19
	v_cmp_gt_u64_e32 vcc, s[58:59], v[40:41]
	v_and_b32_sdwa v0, v19, s38 dst_sel:DWORD dst_unused:UNUSED_PAD src0_sel:BYTE_3 src1_sel:DWORD
                                        ; implicit-def: $vgpr17
	s_and_saveexec_b64 s[20:21], vcc
	s_xor_b64 s[76:77], exec, s[20:21]
	s_cbranch_execz .LBB0_471
; %bb.462:                              ;   in Loop: Header=BB0_108 Depth=3
	v_mov_b32_e32 v17, 0
	v_cmp_ne_u32_e32 vcc, 0, v19
	s_and_saveexec_b64 s[78:79], vcc
	s_cbranch_execz .LBB0_470
; %bb.463:                              ;   in Loop: Header=BB0_108 Depth=3
	v_bfe_u32 v17, v19, 23, 8
	v_and_b32_e32 v20, 0x7fffff, v19
	v_cmp_gt_u32_e64 s[20:21], s48, v17
	v_sub_u32_e32 v19, 0x79, v17
	v_cmp_eq_u32_e32 vcc, 0, v17
	v_cndmask_b32_e64 v19, 0, v19, s[20:21]
	v_cndmask_b32_e32 v22, v19, v7, vcc
	v_or_b32_e32 v21, 0x800000, v20
	v_add_u32_e32 v19, 20, v22
	v_cndmask_b32_e32 v40, v21, v20, vcc
	v_lshlrev_b64 v[19:20], v19, -1
	v_add_u32_e32 v21, 19, v22
	v_lshlrev_b64 v[56:57], v21, 1
	v_bfi_b32 v20, v20, 0, 0
	v_bfi_b32 v19, v19, 0, v40
	v_cmp_eq_u64_e64 s[20:21], v[19:20], v[56:57]
	v_lshrrev_b64 v[19:20], v22, v[40:41]
	v_mov_b32_e32 v21, v20
	v_mov_b32_e32 v20, v19
	s_and_saveexec_b64 s[88:89], s[20:21]
; %bb.464:                              ;   in Loop: Header=BB0_108 Depth=3
	v_bfe_u32 v20, v19, 20, 1
	v_add_co_u32_e64 v20, s[20:21], v19, v20
	v_add_co_u32_e64 v20, s[20:21], -1, v20
; %bb.465:                              ;   in Loop: Header=BB0_108 Depth=3
	s_or_b64 exec, exec, s[88:89]
	v_add_u32_e32 v17, 0xffffff81, v17
	v_cndmask_b32_e32 v17, v17, v8, vcc
	v_lshrrev_b32_e32 v21, 23, v19
	v_add3_u32 v22, v22, v17, v21
	v_add_u32_e32 v21, 6, v22
	v_and_b32_e32 v17, 0xfffff, v20
	v_add_u32_e32 v40, v17, v19
	v_cmp_ne_u32_e32 vcc, 0, v21
                                        ; implicit-def: $vgpr19_vgpr20
                                        ; implicit-def: $vgpr17
	s_and_saveexec_b64 s[20:21], vcc
	s_xor_b64 s[20:21], exec, s[20:21]
; %bb.466:                              ;   in Loop: Header=BB0_108 Depth=3
	v_cmp_lt_u64_e32 vcc, s[60:61], v[40:41]
	v_add_u32_e32 v17, 7, v22
	v_cndmask_b32_e64 v19, 0, 1, vcc
	v_cndmask_b32_e32 v17, v21, v17, vcc
	v_lshrrev_b64 v[19:20], v19, v[40:41]
; %bb.467:                              ;   in Loop: Header=BB0_108 Depth=3
	s_andn2_saveexec_b64 s[20:21], s[20:21]
; %bb.468:                              ;   in Loop: Header=BB0_108 Depth=3
	v_mov_b32_e32 v19, v40
	v_bfe_u32 v17, v40, 23, 1
	v_mov_b32_e32 v20, v41
; %bb.469:                              ;   in Loop: Header=BB0_108 Depth=3
	s_or_b64 exec, exec, s[20:21]
	v_lshrrev_b64 v[19:20], 20, v[19:20]
	v_cmp_gt_i32_e32 vcc, 16, v17
	v_cndmask_b32_e32 v20, 0, v20, vcc
	v_cndmask_b32_e32 v19, 7, v19, vcc
	v_cmp_eq_u32_e32 vcc, 0, v17
	v_min_i32_e32 v17, 15, v17
	v_cmp_eq_u64_e64 s[20:21], 0, v[19:20]
	v_lshlrev_b32_e32 v17, 3, v17
	v_and_b32_e32 v17, 0xf8, v17
	v_and_or_b32 v17, v19, 7, v17
	s_and_b64 s[20:21], vcc, s[20:21]
	v_cndmask_b32_e64 v17, v17, 0, s[20:21]
	v_or_b32_e32 v17, v17, v0
.LBB0_470:                              ;   in Loop: Header=BB0_108 Depth=3
	s_or_b64 exec, exec, s[78:79]
                                        ; implicit-def: $vgpr0
.LBB0_471:                              ;   in Loop: Header=BB0_108 Depth=3
	s_andn2_saveexec_b64 s[20:21], s[76:77]
; %bb.472:                              ;   in Loop: Header=BB0_108 Depth=3
	v_or_b32_e32 v17, 0x7e, v0
; %bb.473:                              ;   in Loop: Header=BB0_108 Depth=3
	s_or_b64 exec, exec, s[20:21]
                                        ; implicit-def: $vgpr19
.LBB0_474:                              ;   in Loop: Header=BB0_108 Depth=3
	s_andn2_saveexec_b64 s[20:21], s[74:75]
	s_cbranch_execz .LBB0_107
; %bb.475:                              ;   in Loop: Header=BB0_108 Depth=3
	v_or_b32_sdwa v17, v19, s39 dst_sel:DWORD dst_unused:UNUSED_PAD src0_sel:BYTE_3 src1_sel:DWORD
	s_branch .LBB0_107
.LBB0_476:                              ;   in Loop: Header=BB0_70 Depth=2
	s_or_b64 exec, exec, s[62:63]
	s_and_saveexec_b64 s[20:21], s[10:11]
	s_cbranch_execz .LBB0_489
.LBB0_477:                              ;   in Loop: Header=BB0_70 Depth=2
	s_and_saveexec_b64 s[62:63], s[42:43]
	s_xor_b64 s[62:63], exec, s[62:63]
	s_cbranch_execz .LBB0_498
; %bb.478:                              ;   in Loop: Header=BB0_70 Depth=2
	s_and_saveexec_b64 s[72:73], s[12:13]
	s_cbranch_execz .LBB0_497
; %bb.479:                              ;   in Loop: Header=BB0_70 Depth=2
	s_mov_b64 s[76:77], exec
	s_waitcnt vmcnt(0) lgkmcnt(0)
	v_mbcnt_lo_u32_b32 v0, s76, 0
	v_mbcnt_hi_u32_b32 v0, s77, v0
	v_cmp_eq_u32_e32 vcc, 0, v0
	buffer_wbinvl1_vol
	s_and_saveexec_b64 s[74:75], vcc
	s_cbranch_execz .LBB0_481
; %bb.480:                              ;   in Loop: Header=BB0_70 Depth=2
	s_bcnt1_i32_b64 s28, s[76:77]
	v_mov_b32_e32 v40, s28
	ds_add_u64 v0, v[40:41]
	s_trap 2
.LBB0_481:                              ;   in Loop: Header=BB0_70 Depth=2
	s_or_b64 exec, exec, s[74:75]
	s_trap 2
	ds_read_b64 v[9:10], v0
	s_waitcnt lgkmcnt(0)
	buffer_load_dword v0, off, s[0:3], s32 offset:96 ; 4-byte Folded Reload
	s_waitcnt vmcnt(0)
	v_add_co_u32_e32 v2, vcc, v2, v0
	v_addc_co_u32_e32 v3, vcc, 0, v3, vcc
	v_cmp_lt_u64_e32 vcc, v[9:10], v[2:3]
	s_and_saveexec_b64 s[74:75], vcc
	s_cbranch_execz .LBB0_496
; %bb.482:                              ;   in Loop: Header=BB0_70 Depth=2
	s_mov_b32 s28, 0
	s_mov_b64 s[76:77], 0
                                        ; implicit-def: $sgpr78_sgpr79
                                        ; implicit-def: $sgpr88_sgpr89
	s_branch .LBB0_484
.LBB0_483:                              ;   in Loop: Header=BB0_484 Depth=3
	s_or_b64 exec, exec, s[92:93]
	s_and_b64 s[90:91], exec, s[94:95]
	s_or_b64 s[76:77], s[90:91], s[76:77]
	s_andn2_b64 s[78:79], s[78:79], exec
	s_and_b64 s[90:91], s[88:89], exec
	s_or_b64 s[78:79], s[78:79], s[90:91]
	s_andn2_b64 exec, exec, s[76:77]
	s_cbranch_execz .LBB0_494
.LBB0_484:                              ;   Parent Loop BB0_21 Depth=1
                                        ;     Parent Loop BB0_70 Depth=2
                                        ; =>    This Inner Loop Header: Depth=3
	s_add_i32 s28, s28, 1
	s_cmpk_lg_i32 s28, 0x2710
	s_cselect_b64 s[90:91], -1, 0
	s_and_b64 vcc, exec, s[90:91]
	s_cbranch_vccz .LBB0_486
; %bb.485:                              ;   in Loop: Header=BB0_484 Depth=3
	s_mov_b64 s[94:95], -1
	s_or_b64 s[88:89], s[88:89], exec
	s_and_saveexec_b64 s[92:93], s[90:91]
	s_cbranch_execz .LBB0_483
	s_branch .LBB0_487
.LBB0_486:                              ;   in Loop: Header=BB0_484 Depth=3
	s_trap 2
	ds_read_b64 v[9:10], v0
	s_andn2_b64 s[90:91], s[90:91], exec
	s_mov_b32 s28, 0
	s_waitcnt lgkmcnt(0)
	flat_load_dword v0, v[9:10] glc
	s_waitcnt vmcnt(0) lgkmcnt(0)
	buffer_wbinvl1_vol
	v_cmp_eq_u32_e32 vcc, 0, v0
	s_and_b64 s[92:93], vcc, exec
	s_or_b64 s[90:91], s[90:91], s[92:93]
	s_mov_b64 s[94:95], -1
	s_or_b64 s[88:89], s[88:89], exec
	s_and_saveexec_b64 s[92:93], s[90:91]
	s_cbranch_execz .LBB0_483
.LBB0_487:                              ;   in Loop: Header=BB0_484 Depth=3
	s_sleep 1
	s_trap 2
	ds_read_b64 v[9:10], v0
	s_waitcnt lgkmcnt(0)
	s_andn2_b64 s[88:89], s[88:89], exec
	v_cmp_ge_u64_e32 vcc, v[9:10], v[2:3]
	s_orn2_b64 s[94:95], vcc, exec
	s_branch .LBB0_483
.LBB0_488:                              ;   in Loop: Header=BB0_70 Depth=2
	s_or_b64 exec, exec, s[72:73]
	s_or_b64 exec, exec, s[62:63]
	s_and_saveexec_b64 s[20:21], s[10:11]
	s_cbranch_execnz .LBB0_477
.LBB0_489:                              ;   in Loop: Header=BB0_70 Depth=2
	s_or_b64 exec, exec, s[20:21]
	s_and_saveexec_b64 s[20:21], s[16:17]
	s_cbranch_execz .LBB0_491
.LBB0_490:                              ;   in Loop: Header=BB0_70 Depth=2
	buffer_load_dword v9, off, s[0:3], s32 offset:68 ; 4-byte Folded Reload
	buffer_load_dword v10, off, s[0:3], s32 offset:72 ; 4-byte Folded Reload
	v_add_co_u32_e32 v38, vcc, 1, v38
	v_addc_co_u32_e32 v39, vcc, 0, v39, vcc
	s_waitcnt vmcnt(0)
	flat_store_dwordx2 v[9:10], v[38:39]
.LBB0_491:                              ;   in Loop: Header=BB0_70 Depth=2
	s_or_b64 exec, exec, s[20:21]
	v_and_b32_e32 v40, 0x7ffffff8, v46
	v_cmp_eq_u64_e32 vcc, s[46:47], v[40:41]
	v_cmp_gt_i32_e64 s[20:21], s36, v58
	s_and_b64 s[20:21], vcc, s[20:21]
	s_and_saveexec_b64 s[62:63], s[20:21]
	s_cbranch_execz .LBB0_69
; %bb.492:                              ;   in Loop: Header=BB0_70 Depth=2
	s_waitcnt vmcnt(0) lgkmcnt(0)
	v_and_b32_e32 v0, 7, v49
	v_mul_lo_u32 v9, s36, v0
	v_ashrrev_i32_e32 v59, 31, v58
	v_lshlrev_b64 v[19:20], 4, v[58:59]
	v_mov_b32_e32 v17, v41
	v_ashrrev_i32_e32 v10, 31, v9
	v_lshlrev_b64 v[9:10], 4, v[9:10]
	s_mov_b64 s[72:73], 0
	v_add_co_u32_e32 v0, vcc, v19, v9
	v_addc_co_u32_e32 v9, vcc, v20, v10, vcc
	v_add_co_u32_e32 v21, vcc, v36, v0
	v_addc_co_u32_e32 v22, vcc, v37, v9, vcc
.LBB0_493:                              ;   Parent Loop BB0_21 Depth=1
                                        ;     Parent Loop BB0_70 Depth=2
                                        ; =>    This Inner Loop Header: Depth=3
	v_mov_b32_e32 v19, v17
	v_mov_b32_e32 v20, v18
	v_add_u32_e32 v58, v58, v1
	global_store_dwordx4 v[21:22], v[17:20], off
	v_add_co_u32_e32 v21, vcc, v21, v5
	v_cmp_le_i32_e64 s[20:21], s36, v58
	s_or_b64 s[72:73], s[20:21], s[72:73]
	v_addc_co_u32_e32 v22, vcc, v22, v6, vcc
	s_andn2_b64 exec, exec, s[72:73]
	s_cbranch_execnz .LBB0_493
	s_branch .LBB0_69
.LBB0_494:                              ;   in Loop: Header=BB0_70 Depth=2
	s_or_b64 exec, exec, s[76:77]
	s_and_saveexec_b64 s[76:77], s[78:79]
	s_xor_b64 s[76:77], exec, s[76:77]
	s_cbranch_execz .LBB0_496
; %bb.495:                              ;   in Loop: Header=BB0_70 Depth=2
	v_mov_b32_e32 v0, 1
	ds_write_b32 v0, v0
	s_trap 2
.LBB0_496:                              ;   in Loop: Header=BB0_70 Depth=2
	s_or_b64 exec, exec, s[74:75]
	;;#ASMSTART
	s_wakeup
	;;#ASMEND
.LBB0_497:                              ;   in Loop: Header=BB0_70 Depth=2
	s_or_b64 exec, exec, s[72:73]
.LBB0_498:                              ;   in Loop: Header=BB0_70 Depth=2
	s_andn2_saveexec_b64 s[62:63], s[62:63]
	s_cbranch_execz .LBB0_500
; %bb.499:                              ;   in Loop: Header=BB0_70 Depth=2
	s_waitcnt vmcnt(0) lgkmcnt(0)
	buffer_wbinvl1_vol
	s_barrier
.LBB0_500:                              ;   in Loop: Header=BB0_70 Depth=2
	s_or_b64 exec, exec, s[62:63]
	s_or_b64 exec, exec, s[20:21]
	s_and_saveexec_b64 s[20:21], s[16:17]
	s_cbranch_execnz .LBB0_490
	s_branch .LBB0_491
.LBB0_501:                              ;   in Loop: Header=BB0_21 Depth=1
	buffer_load_dword v48, off, s[0:3], s32 offset:152 ; 4-byte Folded Reload
	buffer_load_dword v49, off, s[0:3], s32 offset:156 ; 4-byte Folded Reload
.LBB0_502:                              ;   in Loop: Header=BB0_21 Depth=1
	v_mov_b32_e32 v21, v46
	v_mov_b32_e32 v22, v47
	buffer_load_dword v25, off, s[0:3], s32 offset:116 ; 4-byte Folded Reload
	buffer_load_dword v27, off, s[0:3], s32 offset:120 ; 4-byte Folded Reload
	s_and_saveexec_b64 s[20:21], s[18:19]
	s_cbranch_execz .LBB0_892
; %bb.503:                              ;   in Loop: Header=BB0_21 Depth=1
	s_waitcnt vmcnt(0) lgkmcnt(0)
	flat_load_dword v0, v[23:24]
	buffer_load_dword v17, off, s[0:3], s32 offset:168 ; 4-byte Folded Reload
	buffer_load_dword v18, off, s[0:3], s32 offset:172 ; 4-byte Folded Reload
	;; [unrolled: 1-line block ×6, first 2 shown]
	v_add_u32_e32 v58, 1, v34
	s_mov_b64 s[62:63], 0
	v_mov_b32_e32 v56, v4
	s_waitcnt vmcnt(0) lgkmcnt(0)
	v_ashrrev_i32_e32 v11, 31, v0
	v_mov_b32_e32 v9, v19
	v_mov_b32_e32 v10, v20
	v_add_co_u32_e32 v9, vcc, v9, v25
	v_addc_co_u32_e32 v10, vcc, v10, v27, vcc
	v_mul_lo_u32 v17, v17, v0
	v_mul_lo_u32 v11, v18, v11
	v_mad_u64_u32 v[9:10], s[18:19], v18, v0, v[9:10]
	v_add3_u32 v0, v17, v10, v11
	buffer_load_dword v10, off, s[0:3], s32 offset:124 ; 4-byte Folded Reload
	s_waitcnt vmcnt(0)
	v_add_co_u32_e32 v48, vcc, v9, v10
	v_addc_co_u32_e32 v49, vcc, 0, v0, vcc
	buffer_load_dword v0, off, s[0:3], s32 offset:192 ; 4-byte Folded Reload
	s_waitcnt vmcnt(0)
	v_add_co_u32_e32 v46, vcc, v0, v25
	buffer_load_dword v0, off, s[0:3], s32 offset:196 ; 4-byte Folded Reload
	buffer_load_dword v17, off, s[0:3], s32 offset:76 ; 4-byte Folded Reload
	;; [unrolled: 1-line block ×3, first 2 shown]
	s_waitcnt vmcnt(2)
	v_addc_co_u32_e32 v47, vcc, v0, v27, vcc
	v_and_b32_e32 v0, 7, v34
	v_mul_lo_u32 v9, v0, s36
	v_ashrrev_i32_e32 v10, 31, v9
	v_lshlrev_b64 v[9:10], 4, v[9:10]
	s_waitcnt vmcnt(1)
	v_add_co_u32_e32 v42, vcc, v17, v9
	s_waitcnt vmcnt(0)
	v_addc_co_u32_e32 v43, vcc, v18, v10, vcc
	s_branch .LBB0_505
.LBB0_504:                              ;   in Loop: Header=BB0_505 Depth=2
	v_add_co_u32_e32 v48, vcc, v48, v12
	v_addc_co_u32_e32 v49, vcc, 0, v49, vcc
	v_add_co_u32_e32 v46, vcc, v46, v12
	v_addc_co_u32_e32 v47, vcc, 0, v47, vcc
	v_sub_u32_e32 v32, v32, v12
	v_cmp_gt_i32_e32 vcc, 1, v32
	s_or_b64 s[62:63], vcc, s[62:63]
	v_add_u32_e32 v56, v56, v1
	s_andn2_b64 exec, exec, s[62:63]
	s_cbranch_execz .LBB0_891
.LBB0_505:                              ;   Parent Loop BB0_21 Depth=1
                                        ; =>  This Loop Header: Depth=2
                                        ;       Child Loop BB0_513 Depth 3
	v_and_b32_e32 v17, -4, v48
	v_mov_b32_e32 v18, v49
	global_load_dword v0, v[17:18], off glc slc
	v_min_u32_e32 v9, 8, v32
	v_and_b32_e32 v10, 3, v48
	v_add_u32_e32 v40, v10, v9
	v_cmp_lt_u32_e32 vcc, 4, v40
	v_mov_b32_e32 v25, 0
	v_mov_b32_e32 v31, 0
	s_and_saveexec_b64 s[18:19], vcc
	s_cbranch_execz .LBB0_507
; %bb.506:                              ;   in Loop: Header=BB0_505 Depth=2
	global_load_dword v31, v[17:18], off offset:4 glc slc
.LBB0_507:                              ;   in Loop: Header=BB0_505 Depth=2
	s_or_b64 exec, exec, s[18:19]
	v_cmp_lt_u64_e32 vcc, 8, v[40:41]
	s_and_saveexec_b64 s[18:19], vcc
	s_cbranch_execz .LBB0_509
; %bb.508:                              ;   in Loop: Header=BB0_505 Depth=2
	global_load_dword v25, v[17:18], off offset:8 glc slc
.LBB0_509:                              ;   in Loop: Header=BB0_505 Depth=2
	s_or_b64 exec, exec, s[18:19]
	v_mov_b32_e32 v57, v41
	v_lshlrev_b64 v[9:10], 4, v[56:57]
	v_add_co_u32_e32 v29, vcc, v42, v9
	v_addc_co_u32_e32 v30, vcc, v43, v10, vcc
	global_load_dwordx4 v[17:20], v[29:30], off glc slc
	v_cmp_eq_u32_e32 vcc, 0, v55
	v_mov_b32_e32 v55, 1
	s_and_saveexec_b64 s[72:73], vcc
	s_cbranch_execz .LBB0_521
; %bb.510:                              ;   in Loop: Header=BB0_505 Depth=2
	s_waitcnt vmcnt(0)
	v_cmp_ne_u32_e32 vcc, v58, v18
	v_cmp_ne_u32_e64 s[18:19], v58, v20
	s_or_b64 s[18:19], vcc, s[18:19]
	v_mov_b32_e32 v55, 0
	s_and_saveexec_b64 s[74:75], s[18:19]
	s_cbranch_execz .LBB0_520
; %bb.511:                              ;   in Loop: Header=BB0_505 Depth=2
	s_mov_b32 s28, 1
	s_mov_b64 s[78:79], 0
                                        ; implicit-def: $sgpr76_sgpr77
                                        ; implicit-def: $sgpr88_sgpr89
	s_branch .LBB0_513
.LBB0_512:                              ;   in Loop: Header=BB0_513 Depth=3
	s_or_b64 exec, exec, s[92:93]
	s_and_b64 s[18:19], exec, s[18:19]
	s_or_b64 s[78:79], s[18:19], s[78:79]
	s_andn2_b64 s[18:19], s[76:77], exec
	s_and_b64 s[76:77], s[88:89], exec
	s_or_b64 s[76:77], s[18:19], s[76:77]
	s_andn2_b64 exec, exec, s[78:79]
	s_cbranch_execz .LBB0_517
.LBB0_513:                              ;   Parent Loop BB0_21 Depth=1
                                        ;     Parent Loop BB0_505 Depth=2
                                        ; =>    This Inner Loop Header: Depth=3
	global_load_dwordx4 v[17:20], v[29:30], off glc slc
	s_add_i32 s28, s28, 1
	s_mov_b64 s[18:19], -1
	s_cmpk_lg_i32 s28, 0x2710
	s_mov_b64 s[90:91], -1
                                        ; implicit-def: $vgpr9
	s_cbranch_scc0 .LBB0_515
; %bb.514:                              ;   in Loop: Header=BB0_513 Depth=3
	s_or_b64 s[88:89], s[88:89], exec
	s_and_saveexec_b64 s[92:93], s[90:91]
	s_cbranch_execz .LBB0_512
	s_branch .LBB0_516
.LBB0_515:                              ;   in Loop: Header=BB0_513 Depth=3
	s_trap 2
	ds_read_b64 v[9:10], v0
	s_mov_b32 s28, 0
	s_waitcnt vmcnt(0) lgkmcnt(0)
	flat_load_dword v9, v[9:10] glc
	s_waitcnt vmcnt(0) lgkmcnt(0)
	buffer_wbinvl1_vol
	v_cmp_eq_u32_e32 vcc, 0, v9
	s_orn2_b64 s[90:91], vcc, exec
	s_or_b64 s[88:89], s[88:89], exec
	s_and_saveexec_b64 s[92:93], s[90:91]
	s_cbranch_execz .LBB0_512
.LBB0_516:                              ;   in Loop: Header=BB0_513 Depth=3
	s_waitcnt vmcnt(0)
	v_cmp_eq_u32_e32 vcc, v58, v18
	v_cmp_eq_u32_e64 s[18:19], v58, v20
	s_and_b64 s[18:19], vcc, s[18:19]
	s_andn2_b64 s[88:89], s[88:89], exec
	s_orn2_b64 s[18:19], s[18:19], exec
	s_branch .LBB0_512
.LBB0_517:                              ;   in Loop: Header=BB0_505 Depth=2
	s_or_b64 exec, exec, s[78:79]
	v_mov_b32_e32 v55, 0
	s_and_saveexec_b64 s[18:19], s[76:77]
	s_xor_b64 s[18:19], exec, s[18:19]
	s_cbranch_execz .LBB0_519
; %bb.518:                              ;   in Loop: Header=BB0_505 Depth=2
	v_mov_b32_e32 v55, 1
	ds_write_b32 v0, v9
	s_trap 2
.LBB0_519:                              ;   in Loop: Header=BB0_505 Depth=2
	s_or_b64 exec, exec, s[18:19]
.LBB0_520:                              ;   in Loop: Header=BB0_505 Depth=2
	s_or_b64 exec, exec, s[74:75]
.LBB0_521:                              ;   in Loop: Header=BB0_505 Depth=2
	s_or_b64 exec, exec, s[72:73]
	s_waitcnt vmcnt(0)
	v_lshlrev_b32_e32 v20, 3, v48
	v_alignbit_b32 v40, v31, v0, v20
	v_cmp_ne_u16_sdwa s[18:19], v17, v41 src0_sel:BYTE_0 src1_sel:DWORD
                                        ; implicit-def: $vgpr10
	s_and_saveexec_b64 s[72:73], s[14:15]
	s_xor_b64 s[72:73], exec, s[72:73]
	s_cbranch_execz .LBB0_535
; %bb.522:                              ;   in Loop: Header=BB0_505 Depth=2
	v_mov_b32_e32 v9, 0
	v_mov_b32_e32 v0, 0
	s_and_saveexec_b64 s[74:75], s[18:19]
	s_cbranch_execz .LBB0_528
; %bb.523:                              ;   in Loop: Header=BB0_505 Depth=2
	v_cmp_ne_u16_sdwa s[78:79], v17, s38 src0_sel:BYTE_0 src1_sel:DWORD
	v_bfrev_b32_e32 v0, 1
	s_and_saveexec_b64 s[76:77], s[78:79]
	s_cbranch_execz .LBB0_527
; %bb.524:                              ;   in Loop: Header=BB0_505 Depth=2
	v_and_b32_e32 v10, 0x7f, v17
	v_cmp_ne_u32_e32 vcc, s39, v10
	v_mov_b32_e32 v0, 0x7f800001
	s_and_saveexec_b64 s[78:79], vcc
	s_cbranch_execz .LBB0_526
; %bb.525:                              ;   in Loop: Header=BB0_505 Depth=2
	v_and_b32_e32 v0, 7, v17
	v_ffbh_u32_e32 v0, v0
	v_min_u32_e32 v0, 32, v0
	v_lshrrev_b32_e32 v11, 3, v10
	v_cmp_gt_u32_e32 vcc, 8, v10
	v_subrev_u32_e32 v10, 28, v0
	v_sub_u32_e32 v0, 29, v0
	v_cndmask_b32_e32 v10, 0, v10, vcc
	v_cndmask_b32_e32 v0, v11, v0, vcc
	v_lshlrev_b64 v[10:11], v10, v[17:18]
	v_lshlrev_b32_e32 v11, 24, v17
	v_lshlrev_b32_e32 v10, 20, v10
	v_and_b32_e32 v10, 0x700000, v10
	v_and_b32_e32 v11, 0x80000000, v11
	v_lshl_add_u32 v0, v0, 23, v26
	v_or3_b32 v0, v11, v0, v10
.LBB0_526:                              ;   in Loop: Header=BB0_505 Depth=2
	s_or_b64 exec, exec, s[78:79]
.LBB0_527:                              ;   in Loop: Header=BB0_505 Depth=2
	s_or_b64 exec, exec, s[76:77]
.LBB0_528:                              ;   in Loop: Header=BB0_505 Depth=2
	s_or_b64 exec, exec, s[74:75]
	v_cmp_ne_u16_sdwa s[76:77], v40, v41 src0_sel:BYTE_0 src1_sel:DWORD
	s_and_saveexec_b64 s[74:75], s[76:77]
	s_cbranch_execz .LBB0_534
; %bb.529:                              ;   in Loop: Header=BB0_505 Depth=2
	v_cmp_ne_u16_sdwa s[78:79], v40, s38 src0_sel:BYTE_0 src1_sel:DWORD
	v_bfrev_b32_e32 v9, 1
	s_and_saveexec_b64 s[76:77], s[78:79]
	s_cbranch_execz .LBB0_533
; %bb.530:                              ;   in Loop: Header=BB0_505 Depth=2
	v_and_b32_e32 v10, 0x7f, v40
	v_cmp_ne_u32_e32 vcc, s39, v10
	v_mov_b32_e32 v9, 0x7f800001
	s_and_saveexec_b64 s[78:79], vcc
	s_cbranch_execz .LBB0_532
; %bb.531:                              ;   in Loop: Header=BB0_505 Depth=2
	v_and_b32_e32 v9, 7, v40
	v_ffbh_u32_e32 v9, v9
	v_min_u32_e32 v9, 32, v9
	v_lshrrev_b32_e32 v11, 3, v10
	v_cmp_gt_u32_e32 vcc, 8, v10
	v_subrev_u32_e32 v10, 28, v9
	v_sub_u32_e32 v9, 29, v9
	v_cndmask_b32_e32 v11, v11, v9, vcc
	v_cndmask_b32_e32 v9, 0, v10, vcc
	v_lshlrev_b64 v[9:10], v9, v[40:41]
	v_lshlrev_b32_e32 v10, 24, v40
	v_lshlrev_b32_e32 v9, 20, v9
	v_and_b32_e32 v9, 0x700000, v9
	v_and_b32_e32 v10, 0x80000000, v10
	v_lshl_add_u32 v11, v11, 23, v26
	v_or3_b32 v9, v10, v11, v9
.LBB0_532:                              ;   in Loop: Header=BB0_505 Depth=2
	s_or_b64 exec, exec, s[78:79]
.LBB0_533:                              ;   in Loop: Header=BB0_505 Depth=2
	s_or_b64 exec, exec, s[76:77]
.LBB0_534:                              ;   in Loop: Header=BB0_505 Depth=2
	s_or_b64 exec, exec, s[74:75]
	v_max_f32_e32 v9, v9, v9
	v_max_f32_e32 v0, v0, v0
	;; [unrolled: 1-line block ×3, first 2 shown]
.LBB0_535:                              ;   in Loop: Header=BB0_505 Depth=2
	s_andn2_saveexec_b64 s[72:73], s[72:73]
	s_cbranch_execz .LBB0_549
; %bb.536:                              ;   in Loop: Header=BB0_505 Depth=2
	v_mov_b32_e32 v9, 0
	v_mov_b32_e32 v0, 0
	s_and_saveexec_b64 s[74:75], s[18:19]
	s_cbranch_execz .LBB0_542
; %bb.537:                              ;   in Loop: Header=BB0_505 Depth=2
	v_cmp_ne_u16_sdwa s[76:77], v17, s38 src0_sel:BYTE_0 src1_sel:DWORD
	v_bfrev_b32_e32 v0, 1
	s_and_saveexec_b64 s[18:19], s[76:77]
	s_cbranch_execz .LBB0_541
; %bb.538:                              ;   in Loop: Header=BB0_505 Depth=2
	v_and_b32_e32 v10, 0x7f, v17
	v_cmp_ne_u32_e32 vcc, s39, v10
	v_mov_b32_e32 v0, 0x7f800001
	s_and_saveexec_b64 s[76:77], vcc
	s_cbranch_execz .LBB0_540
; %bb.539:                              ;   in Loop: Header=BB0_505 Depth=2
	v_and_b32_e32 v0, 7, v17
	v_ffbh_u32_e32 v0, v0
	v_min_u32_e32 v0, 32, v0
	v_lshrrev_b32_e32 v11, 3, v10
	v_cmp_gt_u32_e32 vcc, 8, v10
	v_subrev_u32_e32 v10, 28, v0
	v_sub_u32_e32 v0, 29, v0
	v_cndmask_b32_e32 v10, 0, v10, vcc
	v_cndmask_b32_e32 v0, v11, v0, vcc
	v_lshlrev_b64 v[10:11], v10, v[17:18]
	v_lshlrev_b32_e32 v11, 24, v17
	v_lshlrev_b32_e32 v10, 20, v10
	v_and_b32_e32 v10, 0x700000, v10
	v_and_b32_e32 v11, 0x80000000, v11
	v_lshl_add_u32 v0, v0, 23, v26
	v_or3_b32 v0, v11, v0, v10
.LBB0_540:                              ;   in Loop: Header=BB0_505 Depth=2
	s_or_b64 exec, exec, s[76:77]
.LBB0_541:                              ;   in Loop: Header=BB0_505 Depth=2
	s_or_b64 exec, exec, s[18:19]
.LBB0_542:                              ;   in Loop: Header=BB0_505 Depth=2
	s_or_b64 exec, exec, s[74:75]
	v_cmp_ne_u16_sdwa s[74:75], v40, v41 src0_sel:BYTE_0 src1_sel:DWORD
	s_and_saveexec_b64 s[18:19], s[74:75]
	s_cbranch_execz .LBB0_548
; %bb.543:                              ;   in Loop: Header=BB0_505 Depth=2
	v_cmp_ne_u16_sdwa s[76:77], v40, s38 src0_sel:BYTE_0 src1_sel:DWORD
	v_bfrev_b32_e32 v9, 1
	s_and_saveexec_b64 s[74:75], s[76:77]
	s_cbranch_execz .LBB0_547
; %bb.544:                              ;   in Loop: Header=BB0_505 Depth=2
	v_and_b32_e32 v10, 0x7f, v40
	v_cmp_ne_u32_e32 vcc, s39, v10
	v_mov_b32_e32 v9, 0x7f800001
	s_and_saveexec_b64 s[76:77], vcc
	s_cbranch_execz .LBB0_546
; %bb.545:                              ;   in Loop: Header=BB0_505 Depth=2
	v_and_b32_e32 v9, 7, v40
	v_ffbh_u32_e32 v9, v9
	v_min_u32_e32 v9, 32, v9
	v_lshrrev_b32_e32 v11, 3, v10
	v_cmp_gt_u32_e32 vcc, 8, v10
	v_subrev_u32_e32 v10, 28, v9
	v_sub_u32_e32 v9, 29, v9
	v_cndmask_b32_e32 v11, v11, v9, vcc
	v_cndmask_b32_e32 v9, 0, v10, vcc
	v_lshlrev_b64 v[9:10], v9, v[40:41]
	v_lshlrev_b32_e32 v10, 24, v40
	v_lshlrev_b32_e32 v9, 20, v9
	v_and_b32_e32 v9, 0x700000, v9
	v_and_b32_e32 v10, 0x80000000, v10
	v_lshl_add_u32 v11, v11, 23, v26
	v_or3_b32 v9, v10, v11, v9
.LBB0_546:                              ;   in Loop: Header=BB0_505 Depth=2
	s_or_b64 exec, exec, s[76:77]
.LBB0_547:                              ;   in Loop: Header=BB0_505 Depth=2
	s_or_b64 exec, exec, s[74:75]
.LBB0_548:                              ;   in Loop: Header=BB0_505 Depth=2
	s_or_b64 exec, exec, s[18:19]
	v_max_f32_e32 v9, v9, v9
	v_max_f32_e32 v0, v0, v0
	v_min_f32_e32 v10, v0, v9
.LBB0_549:                              ;   in Loop: Header=BB0_505 Depth=2
	s_or_b64 exec, exec, s[72:73]
	v_and_b32_e32 v27, 0x7f800000, v10
	v_mov_b32_e32 v28, v41
	v_cmp_ne_u64_e32 vcc, s[56:57], v[27:28]
                                        ; implicit-def: $vgpr9
	s_and_saveexec_b64 s[18:19], vcc
	s_xor_b64 s[72:73], exec, s[18:19]
	s_cbranch_execz .LBB0_563
; %bb.550:                              ;   in Loop: Header=BB0_505 Depth=2
	v_and_b32_e32 v27, 0x7fffffff, v10
	v_mov_b32_e32 v28, v41
	v_cmp_gt_u64_e32 vcc, s[58:59], v[27:28]
	v_and_b32_sdwa v0, v10, s38 dst_sel:DWORD dst_unused:UNUSED_PAD src0_sel:BYTE_3 src1_sel:DWORD
                                        ; implicit-def: $vgpr9
	s_and_saveexec_b64 s[18:19], vcc
	s_xor_b64 s[74:75], exec, s[18:19]
	s_cbranch_execz .LBB0_560
; %bb.551:                              ;   in Loop: Header=BB0_505 Depth=2
	v_mov_b32_e32 v9, 0
	v_cmp_ne_u32_e32 vcc, 0, v10
	s_and_saveexec_b64 s[76:77], vcc
	s_cbranch_execz .LBB0_559
; %bb.552:                              ;   in Loop: Header=BB0_505 Depth=2
	v_bfe_u32 v9, v10, 23, 8
	v_and_b32_e32 v11, 0x7fffff, v10
	v_cmp_gt_u32_e64 s[18:19], s48, v9
	v_sub_u32_e32 v10, 0x79, v9
	v_cmp_eq_u32_e32 vcc, 0, v9
	v_cndmask_b32_e64 v10, 0, v10, s[18:19]
	v_or_b32_e32 v18, 0x800000, v11
	v_cndmask_b32_e32 v10, v10, v7, vcc
	v_cndmask_b32_e32 v27, v18, v11, vcc
	v_add_u32_e32 v11, 20, v10
	v_lshlrev_b64 v[29:30], v11, -1
	v_mov_b32_e32 v28, v41
	v_add_u32_e32 v11, 19, v10
	v_bfi_b32 v29, v29, 0, v27
	v_lshlrev_b64 v[44:45], v11, 1
	v_lshrrev_b64 v[27:28], v10, v[27:28]
	v_bfi_b32 v30, v30, 0, 0
	v_cmp_eq_u64_e64 s[18:19], v[29:30], v[44:45]
	v_mov_b32_e32 v29, v28
	v_mov_b32_e32 v28, v27
	s_and_saveexec_b64 s[78:79], s[18:19]
; %bb.553:                              ;   in Loop: Header=BB0_505 Depth=2
	v_bfe_u32 v11, v27, 20, 1
	v_add_co_u32_e64 v11, s[18:19], v27, v11
	v_add_co_u32_e64 v28, s[18:19], -1, v11
; %bb.554:                              ;   in Loop: Header=BB0_505 Depth=2
	s_or_b64 exec, exec, s[78:79]
	v_add_u32_e32 v9, 0xffffff81, v9
	v_cndmask_b32_e32 v9, v9, v8, vcc
	v_lshrrev_b32_e32 v11, 23, v27
	v_add3_u32 v11, v10, v9, v11
	v_add_u32_e32 v10, 6, v11
	v_and_b32_e32 v9, 0xfffff, v28
	v_add_u32_e32 v27, v9, v27
	v_mov_b32_e32 v28, v41
	v_cmp_ne_u32_e32 vcc, 0, v10
                                        ; implicit-def: $vgpr9
	s_and_saveexec_b64 s[18:19], vcc
	s_xor_b64 s[18:19], exec, s[18:19]
; %bb.555:                              ;   in Loop: Header=BB0_505 Depth=2
	v_cmp_lt_u64_e32 vcc, s[60:61], v[27:28]
	v_add_u32_e32 v9, 7, v11
	v_cndmask_b32_e32 v9, v10, v9, vcc
	v_cndmask_b32_e64 v10, 0, 1, vcc
	v_lshrrev_b64 v[27:28], v10, v[27:28]
; %bb.556:                              ;   in Loop: Header=BB0_505 Depth=2
	s_andn2_saveexec_b64 s[18:19], s[18:19]
; %bb.557:                              ;   in Loop: Header=BB0_505 Depth=2
	v_bfe_u32 v9, v27, 23, 1
; %bb.558:                              ;   in Loop: Header=BB0_505 Depth=2
	s_or_b64 exec, exec, s[18:19]
	v_lshrrev_b64 v[10:11], 20, v[27:28]
	v_cmp_gt_i32_e32 vcc, 16, v9
	v_cndmask_b32_e32 v11, 0, v11, vcc
	v_cndmask_b32_e32 v10, 7, v10, vcc
	v_cmp_eq_u32_e32 vcc, 0, v9
	v_min_i32_e32 v9, 15, v9
	v_cmp_eq_u64_e64 s[18:19], 0, v[10:11]
	v_lshlrev_b32_e32 v9, 3, v9
	v_and_b32_e32 v9, 0xf8, v9
	v_and_or_b32 v9, v10, 7, v9
	s_and_b64 s[18:19], vcc, s[18:19]
	v_cndmask_b32_e64 v9, v9, 0, s[18:19]
	v_or_b32_e32 v9, v9, v0
.LBB0_559:                              ;   in Loop: Header=BB0_505 Depth=2
	s_or_b64 exec, exec, s[76:77]
                                        ; implicit-def: $vgpr0
.LBB0_560:                              ;   in Loop: Header=BB0_505 Depth=2
	s_andn2_saveexec_b64 s[18:19], s[74:75]
; %bb.561:                              ;   in Loop: Header=BB0_505 Depth=2
	v_or_b32_e32 v9, 0x7e, v0
; %bb.562:                              ;   in Loop: Header=BB0_505 Depth=2
	s_or_b64 exec, exec, s[18:19]
                                        ; implicit-def: $vgpr10
.LBB0_563:                              ;   in Loop: Header=BB0_505 Depth=2
	s_andn2_saveexec_b64 s[18:19], s[72:73]
; %bb.564:                              ;   in Loop: Header=BB0_505 Depth=2
	v_or_b32_sdwa v9, v10, s39 dst_sel:DWORD dst_unused:UNUSED_PAD src0_sel:BYTE_3 src1_sel:DWORD
; %bb.565:                              ;   in Loop: Header=BB0_505 Depth=2
	s_or_b64 exec, exec, s[18:19]
	v_lshrrev_b16_e32 v18, 8, v17
	v_lshrrev_b16_e32 v0, 8, v40
	v_cmp_ne_u16_e32 vcc, 0, v18
                                        ; implicit-def: $vgpr11
	s_and_saveexec_b64 s[18:19], s[14:15]
	s_xor_b64 s[72:73], exec, s[18:19]
	s_cbranch_execz .LBB0_579
; %bb.566:                              ;   in Loop: Header=BB0_505 Depth=2
	v_mov_b32_e32 v11, 0
	v_mov_b32_e32 v10, 0
	s_and_saveexec_b64 s[74:75], vcc
	s_cbranch_execz .LBB0_572
; %bb.567:                              ;   in Loop: Header=BB0_505 Depth=2
	v_cmp_ne_u16_e64 s[18:19], s38, v18
	v_bfrev_b32_e32 v10, 1
	s_and_saveexec_b64 s[76:77], s[18:19]
	s_cbranch_execz .LBB0_571
; %bb.568:                              ;   in Loop: Header=BB0_505 Depth=2
	v_and_b32_e32 v27, 0x7f, v18
	v_cmp_ne_u32_e64 s[18:19], s39, v27
	v_mov_b32_e32 v10, 0x7f800001
	s_and_saveexec_b64 s[78:79], s[18:19]
	s_cbranch_execz .LBB0_570
; %bb.569:                              ;   in Loop: Header=BB0_505 Depth=2
	v_and_b32_e32 v10, 7, v18
	v_lshrrev_b32_e32 v29, 3, v27
	v_cmp_gt_u32_e64 s[18:19], 8, v27
	v_ffbh_u32_e32 v27, v10
	v_min_u32_e32 v30, 32, v27
	v_subrev_u32_e32 v27, 28, v30
	v_lshlrev_b64 v[27:28], v27, v[18:19]
	v_sub_u32_e32 v18, 29, v30
	v_and_b32_e32 v27, 7, v27
	v_cndmask_b32_e64 v18, v29, v18, s[18:19]
	v_cndmask_b32_e64 v10, v10, v27, s[18:19]
	v_lshlrev_b32_e32 v27, 16, v17
	v_lshlrev_b32_e32 v10, 20, v10
	v_and_b32_e32 v27, 0x80000000, v27
	v_lshl_add_u32 v18, v18, 23, v26
	v_or3_b32 v10, v27, v18, v10
.LBB0_570:                              ;   in Loop: Header=BB0_505 Depth=2
	s_or_b64 exec, exec, s[78:79]
.LBB0_571:                              ;   in Loop: Header=BB0_505 Depth=2
	s_or_b64 exec, exec, s[76:77]
.LBB0_572:                              ;   in Loop: Header=BB0_505 Depth=2
	s_or_b64 exec, exec, s[74:75]
	v_cmp_ne_u16_e64 s[18:19], 0, v0
	s_and_saveexec_b64 s[74:75], s[18:19]
	s_cbranch_execz .LBB0_578
; %bb.573:                              ;   in Loop: Header=BB0_505 Depth=2
	v_cmp_ne_u16_e64 s[18:19], s38, v0
	v_bfrev_b32_e32 v11, 1
	s_and_saveexec_b64 s[76:77], s[18:19]
	s_cbranch_execz .LBB0_577
; %bb.574:                              ;   in Loop: Header=BB0_505 Depth=2
	v_and_b32_e32 v18, 0x7f, v0
	v_cmp_ne_u32_e64 s[18:19], s39, v18
	v_mov_b32_e32 v11, 0x7f800001
	s_and_saveexec_b64 s[78:79], s[18:19]
	s_cbranch_execz .LBB0_576
; %bb.575:                              ;   in Loop: Header=BB0_505 Depth=2
	v_and_b32_e32 v11, 7, v0
	v_lshrrev_b32_e32 v29, 3, v18
	v_cmp_gt_u32_e64 s[18:19], 8, v18
	v_ffbh_u32_e32 v18, v11
	v_min_u32_e32 v18, 32, v18
	v_subrev_u32_e32 v27, 28, v18
	v_lshlrev_b64 v[27:28], v27, v[0:1]
	v_sub_u32_e32 v0, 29, v18
	v_and_b32_e32 v18, 7, v27
	v_cndmask_b32_e64 v0, v29, v0, s[18:19]
	v_cndmask_b32_e64 v11, v11, v18, s[18:19]
	v_lshlrev_b32_e32 v18, 16, v40
	v_lshlrev_b32_e32 v11, 20, v11
	v_and_b32_e32 v18, 0x80000000, v18
	v_lshl_add_u32 v0, v0, 23, v26
	v_or3_b32 v11, v18, v0, v11
.LBB0_576:                              ;   in Loop: Header=BB0_505 Depth=2
	s_or_b64 exec, exec, s[78:79]
.LBB0_577:                              ;   in Loop: Header=BB0_505 Depth=2
	s_or_b64 exec, exec, s[76:77]
.LBB0_578:                              ;   in Loop: Header=BB0_505 Depth=2
	s_or_b64 exec, exec, s[74:75]
	v_max_f32_e32 v0, v11, v11
	v_max_f32_e32 v10, v10, v10
	;; [unrolled: 1-line block ×3, first 2 shown]
                                        ; implicit-def: $vgpr0
                                        ; implicit-def: $vgpr18
.LBB0_579:                              ;   in Loop: Header=BB0_505 Depth=2
	s_andn2_saveexec_b64 s[18:19], s[72:73]
	s_cbranch_execz .LBB0_593
; %bb.580:                              ;   in Loop: Header=BB0_505 Depth=2
	v_mov_b32_e32 v11, 0
	v_mov_b32_e32 v10, 0
	s_and_saveexec_b64 s[72:73], vcc
	s_cbranch_execz .LBB0_586
; %bb.581:                              ;   in Loop: Header=BB0_505 Depth=2
	v_cmp_ne_u16_e32 vcc, s38, v18
	v_bfrev_b32_e32 v10, 1
	s_and_saveexec_b64 s[74:75], vcc
	s_cbranch_execz .LBB0_585
; %bb.582:                              ;   in Loop: Header=BB0_505 Depth=2
	v_and_b32_e32 v27, 0x7f, v18
	v_cmp_ne_u32_e32 vcc, s39, v27
	v_mov_b32_e32 v10, 0x7f800001
	s_and_saveexec_b64 s[76:77], vcc
	s_cbranch_execz .LBB0_584
; %bb.583:                              ;   in Loop: Header=BB0_505 Depth=2
	v_and_b32_e32 v10, 7, v18
	v_lshrrev_b32_e32 v29, 3, v27
	v_cmp_gt_u32_e32 vcc, 8, v27
	v_ffbh_u32_e32 v27, v10
	v_min_u32_e32 v30, 32, v27
	v_subrev_u32_e32 v27, 28, v30
	v_lshlrev_b64 v[27:28], v27, v[18:19]
	v_sub_u32_e32 v18, 29, v30
	v_and_b32_e32 v27, 7, v27
	v_cndmask_b32_e32 v18, v29, v18, vcc
	v_cndmask_b32_e32 v10, v10, v27, vcc
	v_lshlrev_b32_e32 v27, 16, v17
	v_lshlrev_b32_e32 v10, 20, v10
	v_and_b32_e32 v27, 0x80000000, v27
	v_lshl_add_u32 v18, v18, 23, v26
	v_or3_b32 v10, v27, v18, v10
.LBB0_584:                              ;   in Loop: Header=BB0_505 Depth=2
	s_or_b64 exec, exec, s[76:77]
.LBB0_585:                              ;   in Loop: Header=BB0_505 Depth=2
	s_or_b64 exec, exec, s[74:75]
.LBB0_586:                              ;   in Loop: Header=BB0_505 Depth=2
	s_or_b64 exec, exec, s[72:73]
	v_cmp_ne_u16_e32 vcc, 0, v0
	s_and_saveexec_b64 s[72:73], vcc
	s_cbranch_execz .LBB0_592
; %bb.587:                              ;   in Loop: Header=BB0_505 Depth=2
	v_cmp_ne_u16_e32 vcc, s38, v0
	v_bfrev_b32_e32 v11, 1
	s_and_saveexec_b64 s[74:75], vcc
	s_cbranch_execz .LBB0_591
; %bb.588:                              ;   in Loop: Header=BB0_505 Depth=2
	v_and_b32_e32 v18, 0x7f, v0
	v_cmp_ne_u32_e32 vcc, s39, v18
	v_mov_b32_e32 v11, 0x7f800001
	s_and_saveexec_b64 s[76:77], vcc
	s_cbranch_execz .LBB0_590
; %bb.589:                              ;   in Loop: Header=BB0_505 Depth=2
	v_and_b32_e32 v11, 7, v0
	v_lshrrev_b32_e32 v29, 3, v18
	v_cmp_gt_u32_e32 vcc, 8, v18
	v_ffbh_u32_e32 v18, v11
	v_min_u32_e32 v18, 32, v18
	v_subrev_u32_e32 v27, 28, v18
	v_lshlrev_b64 v[27:28], v27, v[0:1]
	v_sub_u32_e32 v0, 29, v18
	v_and_b32_e32 v18, 7, v27
	v_cndmask_b32_e32 v0, v29, v0, vcc
	v_cndmask_b32_e32 v11, v11, v18, vcc
	v_lshlrev_b32_e32 v18, 16, v40
	v_lshlrev_b32_e32 v11, 20, v11
	v_and_b32_e32 v18, 0x80000000, v18
	v_lshl_add_u32 v0, v0, 23, v26
	v_or3_b32 v11, v18, v0, v11
.LBB0_590:                              ;   in Loop: Header=BB0_505 Depth=2
	s_or_b64 exec, exec, s[76:77]
.LBB0_591:                              ;   in Loop: Header=BB0_505 Depth=2
	s_or_b64 exec, exec, s[74:75]
.LBB0_592:                              ;   in Loop: Header=BB0_505 Depth=2
	s_or_b64 exec, exec, s[72:73]
	v_max_f32_e32 v0, v11, v11
	v_max_f32_e32 v10, v10, v10
	v_min_f32_e32 v11, v10, v0
.LBB0_593:                              ;   in Loop: Header=BB0_505 Depth=2
	s_or_b64 exec, exec, s[18:19]
	v_and_b32_e32 v27, 0x7f800000, v11
	v_mov_b32_e32 v28, v41
	v_cmp_ne_u64_e32 vcc, s[56:57], v[27:28]
                                        ; implicit-def: $vgpr10
	s_and_saveexec_b64 s[18:19], vcc
	s_xor_b64 s[72:73], exec, s[18:19]
	s_cbranch_execz .LBB0_607
; %bb.594:                              ;   in Loop: Header=BB0_505 Depth=2
	v_and_b32_e32 v27, 0x7fffffff, v11
	v_mov_b32_e32 v28, v41
	v_cmp_gt_u64_e32 vcc, s[58:59], v[27:28]
	v_and_b32_sdwa v0, v11, s38 dst_sel:DWORD dst_unused:UNUSED_PAD src0_sel:BYTE_3 src1_sel:DWORD
                                        ; implicit-def: $vgpr10
	s_and_saveexec_b64 s[18:19], vcc
	s_xor_b64 s[74:75], exec, s[18:19]
	s_cbranch_execz .LBB0_604
; %bb.595:                              ;   in Loop: Header=BB0_505 Depth=2
	v_mov_b32_e32 v10, 0
	v_cmp_ne_u32_e32 vcc, 0, v11
	s_and_saveexec_b64 s[76:77], vcc
	s_cbranch_execz .LBB0_603
; %bb.596:                              ;   in Loop: Header=BB0_505 Depth=2
	v_bfe_u32 v10, v11, 23, 8
	v_and_b32_e32 v18, 0x7fffff, v11
	v_cmp_gt_u32_e64 s[18:19], s48, v10
	v_sub_u32_e32 v11, 0x79, v10
	v_cmp_eq_u32_e32 vcc, 0, v10
	v_cndmask_b32_e64 v11, 0, v11, s[18:19]
	v_or_b32_e32 v27, 0x800000, v18
	v_cndmask_b32_e32 v11, v11, v7, vcc
	v_cndmask_b32_e32 v27, v27, v18, vcc
	v_add_u32_e32 v18, 20, v11
	v_lshlrev_b64 v[29:30], v18, -1
	v_mov_b32_e32 v28, v41
	v_add_u32_e32 v18, 19, v11
	v_bfi_b32 v29, v29, 0, v27
	v_lshlrev_b64 v[44:45], v18, 1
	v_lshrrev_b64 v[27:28], v11, v[27:28]
	v_bfi_b32 v30, v30, 0, 0
	v_cmp_eq_u64_e64 s[18:19], v[29:30], v[44:45]
	v_mov_b32_e32 v29, v28
	v_mov_b32_e32 v28, v27
	s_and_saveexec_b64 s[78:79], s[18:19]
; %bb.597:                              ;   in Loop: Header=BB0_505 Depth=2
	v_bfe_u32 v18, v27, 20, 1
	v_add_co_u32_e64 v18, s[18:19], v27, v18
	v_add_co_u32_e64 v28, s[18:19], -1, v18
; %bb.598:                              ;   in Loop: Header=BB0_505 Depth=2
	s_or_b64 exec, exec, s[78:79]
	v_add_u32_e32 v10, 0xffffff81, v10
	v_cndmask_b32_e32 v10, v10, v8, vcc
	v_lshrrev_b32_e32 v18, 23, v27
	v_add3_u32 v18, v11, v10, v18
	v_add_u32_e32 v11, 6, v18
	v_and_b32_e32 v10, 0xfffff, v28
	v_add_u32_e32 v27, v10, v27
	v_mov_b32_e32 v28, v41
	v_cmp_ne_u32_e32 vcc, 0, v11
                                        ; implicit-def: $vgpr10
	s_and_saveexec_b64 s[18:19], vcc
	s_xor_b64 s[18:19], exec, s[18:19]
; %bb.599:                              ;   in Loop: Header=BB0_505 Depth=2
	v_cmp_lt_u64_e32 vcc, s[60:61], v[27:28]
	v_add_u32_e32 v10, 7, v18
	v_cndmask_b32_e32 v10, v11, v10, vcc
	v_cndmask_b32_e64 v11, 0, 1, vcc
	v_lshrrev_b64 v[27:28], v11, v[27:28]
; %bb.600:                              ;   in Loop: Header=BB0_505 Depth=2
	s_andn2_saveexec_b64 s[18:19], s[18:19]
; %bb.601:                              ;   in Loop: Header=BB0_505 Depth=2
	v_bfe_u32 v10, v27, 23, 1
; %bb.602:                              ;   in Loop: Header=BB0_505 Depth=2
	s_or_b64 exec, exec, s[18:19]
	v_lshrrev_b64 v[27:28], 20, v[27:28]
	v_cmp_gt_i32_e32 vcc, 16, v10
	v_cndmask_b32_e32 v28, 0, v28, vcc
	v_cndmask_b32_e32 v27, 7, v27, vcc
	v_cmp_eq_u32_e32 vcc, 0, v10
	v_min_i32_e32 v10, 15, v10
	v_cmp_eq_u64_e64 s[18:19], 0, v[27:28]
	v_lshlrev_b32_e32 v10, 3, v10
	v_and_b32_e32 v10, 0xf8, v10
	v_and_or_b32 v10, v27, 7, v10
	s_and_b64 s[18:19], vcc, s[18:19]
	v_cndmask_b32_e64 v10, v10, 0, s[18:19]
	v_or_b32_e32 v10, v10, v0
.LBB0_603:                              ;   in Loop: Header=BB0_505 Depth=2
	s_or_b64 exec, exec, s[76:77]
                                        ; implicit-def: $vgpr0
.LBB0_604:                              ;   in Loop: Header=BB0_505 Depth=2
	s_andn2_saveexec_b64 s[18:19], s[74:75]
; %bb.605:                              ;   in Loop: Header=BB0_505 Depth=2
	v_or_b32_e32 v10, 0x7e, v0
; %bb.606:                              ;   in Loop: Header=BB0_505 Depth=2
	s_or_b64 exec, exec, s[18:19]
                                        ; implicit-def: $vgpr11
.LBB0_607:                              ;   in Loop: Header=BB0_505 Depth=2
	s_andn2_saveexec_b64 s[18:19], s[72:73]
; %bb.608:                              ;   in Loop: Header=BB0_505 Depth=2
	v_or_b32_sdwa v10, v11, s39 dst_sel:DWORD dst_unused:UNUSED_PAD src0_sel:BYTE_3 src1_sel:DWORD
; %bb.609:                              ;   in Loop: Header=BB0_505 Depth=2
	s_or_b64 exec, exec, s[18:19]
	v_lshrrev_b32_e32 v18, 16, v17
	v_lshrrev_b32_e32 v0, 16, v40
	v_cmp_ne_u16_sdwa s[18:19], v18, v41 src0_sel:BYTE_0 src1_sel:DWORD
                                        ; implicit-def: $vgpr27
	s_and_saveexec_b64 s[72:73], s[14:15]
	s_xor_b64 s[72:73], exec, s[72:73]
	s_cbranch_execz .LBB0_623
; %bb.610:                              ;   in Loop: Header=BB0_505 Depth=2
	v_mov_b32_e32 v27, 0
	v_mov_b32_e32 v11, 0
	s_and_saveexec_b64 s[74:75], s[18:19]
	s_cbranch_execz .LBB0_616
; %bb.611:                              ;   in Loop: Header=BB0_505 Depth=2
	v_cmp_ne_u16_sdwa s[78:79], v18, s38 src0_sel:BYTE_0 src1_sel:DWORD
	v_bfrev_b32_e32 v11, 1
	s_and_saveexec_b64 s[76:77], s[78:79]
	s_cbranch_execz .LBB0_615
; %bb.612:                              ;   in Loop: Header=BB0_505 Depth=2
	v_bfe_u32 v28, v17, 16, 7
	v_cmp_ne_u32_e32 vcc, s39, v28
	v_mov_b32_e32 v11, 0x7f800001
	s_and_saveexec_b64 s[78:79], vcc
	s_cbranch_execz .LBB0_614
; %bb.613:                              ;   in Loop: Header=BB0_505 Depth=2
	v_and_b32_e32 v11, 7, v18
	v_lshrrev_b32_e32 v30, 3, v28
	v_cmp_gt_u32_e32 vcc, 8, v28
	v_ffbh_u32_e32 v28, v11
	v_min_u32_e32 v33, 32, v28
	v_subrev_u32_e32 v28, 28, v33
	v_lshlrev_b64 v[28:29], v28, v[18:19]
	v_sub_u32_e32 v29, 29, v33
	v_and_b32_e32 v28, 7, v28
	v_cndmask_b32_e32 v29, v30, v29, vcc
	v_cndmask_b32_e32 v11, v11, v28, vcc
	v_lshlrev_b32_e32 v18, 24, v18
	v_lshlrev_b32_e32 v11, 20, v11
	v_and_b32_e32 v18, 0x80000000, v18
	v_lshl_add_u32 v28, v29, 23, v26
	v_or3_b32 v11, v18, v28, v11
.LBB0_614:                              ;   in Loop: Header=BB0_505 Depth=2
	s_or_b64 exec, exec, s[78:79]
.LBB0_615:                              ;   in Loop: Header=BB0_505 Depth=2
	s_or_b64 exec, exec, s[76:77]
.LBB0_616:                              ;   in Loop: Header=BB0_505 Depth=2
	s_or_b64 exec, exec, s[74:75]
	v_and_b32_sdwa v18, v40, s37 dst_sel:DWORD dst_unused:UNUSED_PAD src0_sel:WORD_1 src1_sel:DWORD
	v_cmp_ne_u16_e32 vcc, 0, v18
	s_and_saveexec_b64 s[74:75], vcc
	s_cbranch_execz .LBB0_622
; %bb.617:                              ;   in Loop: Header=BB0_505 Depth=2
	v_cmp_ne_u16_e32 vcc, s38, v18
	v_bfrev_b32_e32 v27, 1
	s_and_saveexec_b64 s[76:77], vcc
	s_cbranch_execz .LBB0_621
; %bb.618:                              ;   in Loop: Header=BB0_505 Depth=2
	v_bfe_u32 v18, v40, 16, 7
	v_cmp_ne_u32_e32 vcc, s39, v18
	v_mov_b32_e32 v27, 0x7f800001
	s_and_saveexec_b64 s[78:79], vcc
	s_cbranch_execz .LBB0_620
; %bb.619:                              ;   in Loop: Header=BB0_505 Depth=2
	v_and_b32_e32 v29, 7, v0
	v_lshrrev_b32_e32 v30, 3, v18
	v_cmp_gt_u32_e32 vcc, 8, v18
	v_ffbh_u32_e32 v18, v29
	v_min_u32_e32 v18, 32, v18
	v_subrev_u32_e32 v27, 28, v18
	v_lshlrev_b64 v[27:28], v27, v[0:1]
	v_sub_u32_e32 v0, 29, v18
	v_and_b32_e32 v18, 7, v27
	v_cndmask_b32_e32 v0, v30, v0, vcc
	v_cndmask_b32_e32 v18, v29, v18, vcc
	v_lshlrev_b32_sdwa v27, v54, v40 dst_sel:DWORD dst_unused:UNUSED_PAD src0_sel:DWORD src1_sel:WORD_1
	v_lshlrev_b32_e32 v18, 20, v18
	v_and_b32_e32 v27, 0x80000000, v27
	v_lshl_add_u32 v0, v0, 23, v26
	v_or3_b32 v27, v27, v0, v18
.LBB0_620:                              ;   in Loop: Header=BB0_505 Depth=2
	s_or_b64 exec, exec, s[78:79]
.LBB0_621:                              ;   in Loop: Header=BB0_505 Depth=2
	s_or_b64 exec, exec, s[76:77]
.LBB0_622:                              ;   in Loop: Header=BB0_505 Depth=2
	s_or_b64 exec, exec, s[74:75]
	v_max_f32_e32 v0, v27, v27
	v_max_f32_e32 v11, v11, v11
	;; [unrolled: 1-line block ×3, first 2 shown]
                                        ; implicit-def: $vgpr18
                                        ; implicit-def: $vgpr0
.LBB0_623:                              ;   in Loop: Header=BB0_505 Depth=2
	s_andn2_saveexec_b64 s[72:73], s[72:73]
	s_cbranch_execz .LBB0_637
; %bb.624:                              ;   in Loop: Header=BB0_505 Depth=2
	v_mov_b32_e32 v27, 0
	v_mov_b32_e32 v11, 0
	s_and_saveexec_b64 s[74:75], s[18:19]
	s_cbranch_execz .LBB0_630
; %bb.625:                              ;   in Loop: Header=BB0_505 Depth=2
	v_cmp_ne_u16_sdwa s[76:77], v18, s38 src0_sel:BYTE_0 src1_sel:DWORD
	v_bfrev_b32_e32 v11, 1
	s_and_saveexec_b64 s[18:19], s[76:77]
	s_cbranch_execz .LBB0_629
; %bb.626:                              ;   in Loop: Header=BB0_505 Depth=2
	v_bfe_u32 v28, v17, 16, 7
	v_cmp_ne_u32_e32 vcc, s39, v28
	v_mov_b32_e32 v11, 0x7f800001
	s_and_saveexec_b64 s[76:77], vcc
	s_cbranch_execz .LBB0_628
; %bb.627:                              ;   in Loop: Header=BB0_505 Depth=2
	v_and_b32_e32 v11, 7, v18
	v_lshrrev_b32_e32 v30, 3, v28
	v_cmp_gt_u32_e32 vcc, 8, v28
	v_ffbh_u32_e32 v28, v11
	v_min_u32_e32 v33, 32, v28
	v_subrev_u32_e32 v28, 28, v33
	v_lshlrev_b64 v[28:29], v28, v[18:19]
	v_sub_u32_e32 v29, 29, v33
	v_and_b32_e32 v28, 7, v28
	v_cndmask_b32_e32 v29, v30, v29, vcc
	v_cndmask_b32_e32 v11, v11, v28, vcc
	v_lshlrev_b32_e32 v18, 24, v18
	v_lshlrev_b32_e32 v11, 20, v11
	v_and_b32_e32 v18, 0x80000000, v18
	v_lshl_add_u32 v28, v29, 23, v26
	v_or3_b32 v11, v18, v28, v11
.LBB0_628:                              ;   in Loop: Header=BB0_505 Depth=2
	s_or_b64 exec, exec, s[76:77]
.LBB0_629:                              ;   in Loop: Header=BB0_505 Depth=2
	s_or_b64 exec, exec, s[18:19]
.LBB0_630:                              ;   in Loop: Header=BB0_505 Depth=2
	s_or_b64 exec, exec, s[74:75]
	v_and_b32_sdwa v18, v40, s37 dst_sel:DWORD dst_unused:UNUSED_PAD src0_sel:WORD_1 src1_sel:DWORD
	v_cmp_ne_u16_e32 vcc, 0, v18
	s_and_saveexec_b64 s[18:19], vcc
	s_cbranch_execz .LBB0_636
; %bb.631:                              ;   in Loop: Header=BB0_505 Depth=2
	v_cmp_ne_u16_e32 vcc, s38, v18
	v_bfrev_b32_e32 v27, 1
	s_and_saveexec_b64 s[74:75], vcc
	s_cbranch_execz .LBB0_635
; %bb.632:                              ;   in Loop: Header=BB0_505 Depth=2
	v_bfe_u32 v18, v40, 16, 7
	v_cmp_ne_u32_e32 vcc, s39, v18
	v_mov_b32_e32 v27, 0x7f800001
	s_and_saveexec_b64 s[76:77], vcc
	s_cbranch_execz .LBB0_634
; %bb.633:                              ;   in Loop: Header=BB0_505 Depth=2
	v_and_b32_e32 v29, 7, v0
	v_lshrrev_b32_e32 v30, 3, v18
	v_cmp_gt_u32_e32 vcc, 8, v18
	v_ffbh_u32_e32 v18, v29
	v_min_u32_e32 v18, 32, v18
	v_subrev_u32_e32 v27, 28, v18
	v_lshlrev_b64 v[27:28], v27, v[0:1]
	v_sub_u32_e32 v0, 29, v18
	v_and_b32_e32 v18, 7, v27
	v_cndmask_b32_e32 v0, v30, v0, vcc
	v_cndmask_b32_e32 v18, v29, v18, vcc
	v_lshlrev_b32_sdwa v27, v54, v40 dst_sel:DWORD dst_unused:UNUSED_PAD src0_sel:DWORD src1_sel:WORD_1
	v_lshlrev_b32_e32 v18, 20, v18
	v_and_b32_e32 v27, 0x80000000, v27
	v_lshl_add_u32 v0, v0, 23, v26
	v_or3_b32 v27, v27, v0, v18
.LBB0_634:                              ;   in Loop: Header=BB0_505 Depth=2
	s_or_b64 exec, exec, s[76:77]
.LBB0_635:                              ;   in Loop: Header=BB0_505 Depth=2
	s_or_b64 exec, exec, s[74:75]
.LBB0_636:                              ;   in Loop: Header=BB0_505 Depth=2
	s_or_b64 exec, exec, s[18:19]
	v_max_f32_e32 v0, v27, v27
	v_max_f32_e32 v11, v11, v11
	v_min_f32_e32 v27, v11, v0
.LBB0_637:                              ;   in Loop: Header=BB0_505 Depth=2
	s_or_b64 exec, exec, s[72:73]
	v_and_b32_e32 v28, 0x7f800000, v27
	v_mov_b32_e32 v29, v41
	v_cmp_ne_u64_e32 vcc, s[56:57], v[28:29]
                                        ; implicit-def: $vgpr11
	s_and_saveexec_b64 s[18:19], vcc
	s_xor_b64 s[72:73], exec, s[18:19]
	s_cbranch_execz .LBB0_651
; %bb.638:                              ;   in Loop: Header=BB0_505 Depth=2
	v_and_b32_e32 v28, 0x7fffffff, v27
	v_mov_b32_e32 v29, v41
	v_cmp_gt_u64_e32 vcc, s[58:59], v[28:29]
	v_and_b32_sdwa v0, v27, s38 dst_sel:DWORD dst_unused:UNUSED_PAD src0_sel:BYTE_3 src1_sel:DWORD
                                        ; implicit-def: $vgpr11
	s_and_saveexec_b64 s[18:19], vcc
	s_xor_b64 s[74:75], exec, s[18:19]
	s_cbranch_execz .LBB0_648
; %bb.639:                              ;   in Loop: Header=BB0_505 Depth=2
	v_mov_b32_e32 v11, 0
	v_cmp_ne_u32_e32 vcc, 0, v27
	s_and_saveexec_b64 s[76:77], vcc
	s_cbranch_execz .LBB0_647
; %bb.640:                              ;   in Loop: Header=BB0_505 Depth=2
	v_bfe_u32 v11, v27, 23, 8
	v_cmp_gt_u32_e64 s[18:19], s48, v11
	v_sub_u32_e32 v18, 0x79, v11
	v_cmp_eq_u32_e32 vcc, 0, v11
	v_cndmask_b32_e64 v18, 0, v18, s[18:19]
	v_cndmask_b32_e32 v18, v18, v7, vcc
	v_and_b32_e32 v28, 0x7fffff, v27
	v_add_u32_e32 v29, 20, v18
	v_or_b32_e32 v27, 0x800000, v28
	v_lshlrev_b64 v[29:30], v29, -1
	v_cndmask_b32_e32 v27, v27, v28, vcc
	v_mov_b32_e32 v28, v41
	v_add_u32_e32 v33, 19, v18
	v_bfi_b32 v29, v29, 0, v27
	v_lshlrev_b64 v[44:45], v33, 1
	v_lshrrev_b64 v[27:28], v18, v[27:28]
	v_bfi_b32 v30, v30, 0, 0
	v_cmp_eq_u64_e64 s[18:19], v[29:30], v[44:45]
	v_mov_b32_e32 v29, v28
	v_mov_b32_e32 v28, v27
	s_and_saveexec_b64 s[78:79], s[18:19]
; %bb.641:                              ;   in Loop: Header=BB0_505 Depth=2
	v_bfe_u32 v28, v27, 20, 1
	v_add_co_u32_e64 v28, s[18:19], v27, v28
	v_add_co_u32_e64 v28, s[18:19], -1, v28
; %bb.642:                              ;   in Loop: Header=BB0_505 Depth=2
	s_or_b64 exec, exec, s[78:79]
	v_add_u32_e32 v11, 0xffffff81, v11
	v_cndmask_b32_e32 v11, v11, v8, vcc
	v_lshrrev_b32_e32 v29, 23, v27
	v_add3_u32 v29, v18, v11, v29
	v_add_u32_e32 v18, 6, v29
	v_and_b32_e32 v11, 0xfffff, v28
	v_add_u32_e32 v27, v11, v27
	v_mov_b32_e32 v28, v41
	v_cmp_ne_u32_e32 vcc, 0, v18
                                        ; implicit-def: $vgpr11
	s_and_saveexec_b64 s[18:19], vcc
	s_xor_b64 s[18:19], exec, s[18:19]
; %bb.643:                              ;   in Loop: Header=BB0_505 Depth=2
	v_cmp_lt_u64_e32 vcc, s[60:61], v[27:28]
	v_add_u32_e32 v11, 7, v29
	v_cndmask_b32_e32 v11, v18, v11, vcc
	v_cndmask_b32_e64 v18, 0, 1, vcc
	v_lshrrev_b64 v[27:28], v18, v[27:28]
; %bb.644:                              ;   in Loop: Header=BB0_505 Depth=2
	s_andn2_saveexec_b64 s[18:19], s[18:19]
; %bb.645:                              ;   in Loop: Header=BB0_505 Depth=2
	v_bfe_u32 v11, v27, 23, 1
; %bb.646:                              ;   in Loop: Header=BB0_505 Depth=2
	s_or_b64 exec, exec, s[18:19]
	v_lshrrev_b64 v[27:28], 20, v[27:28]
	v_cmp_gt_i32_e32 vcc, 16, v11
	v_cndmask_b32_e32 v28, 0, v28, vcc
	v_cndmask_b32_e32 v27, 7, v27, vcc
	v_cmp_eq_u32_e32 vcc, 0, v11
	v_min_i32_e32 v11, 15, v11
	v_cmp_eq_u64_e64 s[18:19], 0, v[27:28]
	v_lshlrev_b32_e32 v11, 3, v11
	v_and_b32_e32 v11, 0xf8, v11
	v_and_or_b32 v11, v27, 7, v11
	s_and_b64 s[18:19], vcc, s[18:19]
	v_cndmask_b32_e64 v11, v11, 0, s[18:19]
	v_or_b32_e32 v11, v11, v0
.LBB0_647:                              ;   in Loop: Header=BB0_505 Depth=2
	s_or_b64 exec, exec, s[76:77]
                                        ; implicit-def: $vgpr0
.LBB0_648:                              ;   in Loop: Header=BB0_505 Depth=2
	s_andn2_saveexec_b64 s[18:19], s[74:75]
; %bb.649:                              ;   in Loop: Header=BB0_505 Depth=2
	v_or_b32_e32 v11, 0x7e, v0
; %bb.650:                              ;   in Loop: Header=BB0_505 Depth=2
	s_or_b64 exec, exec, s[18:19]
                                        ; implicit-def: $vgpr27
.LBB0_651:                              ;   in Loop: Header=BB0_505 Depth=2
	s_andn2_saveexec_b64 s[18:19], s[72:73]
; %bb.652:                              ;   in Loop: Header=BB0_505 Depth=2
	v_or_b32_sdwa v11, v27, s39 dst_sel:DWORD dst_unused:UNUSED_PAD src0_sel:BYTE_3 src1_sel:DWORD
; %bb.653:                              ;   in Loop: Header=BB0_505 Depth=2
	s_or_b64 exec, exec, s[18:19]
	v_lshrrev_b32_e32 v18, 24, v17
	v_lshrrev_b32_e32 v0, 24, v40
	v_cmp_lt_u32_e32 vcc, s49, v17
                                        ; implicit-def: $vgpr27
	s_and_saveexec_b64 s[18:19], s[14:15]
	s_xor_b64 s[72:73], exec, s[18:19]
	s_cbranch_execz .LBB0_667
; %bb.654:                              ;   in Loop: Header=BB0_505 Depth=2
	v_mov_b32_e32 v28, 0
	v_mov_b32_e32 v27, 0
	s_and_saveexec_b64 s[74:75], vcc
	s_cbranch_execz .LBB0_660
; %bb.655:                              ;   in Loop: Header=BB0_505 Depth=2
	v_cmp_ne_u32_e64 s[18:19], s38, v18
	v_bfrev_b32_e32 v27, 1
	s_and_saveexec_b64 s[76:77], s[18:19]
	s_cbranch_execz .LBB0_659
; %bb.656:                              ;   in Loop: Header=BB0_505 Depth=2
	v_bfe_u32 v17, v17, 24, 7
	v_cmp_ne_u32_e64 s[18:19], s39, v17
	v_mov_b32_e32 v27, 0x7f800001
	s_and_saveexec_b64 s[78:79], s[18:19]
	s_cbranch_execz .LBB0_658
; %bb.657:                              ;   in Loop: Header=BB0_505 Depth=2
	v_and_b32_e32 v27, 7, v18
	v_lshrrev_b32_e32 v33, 3, v17
	v_cmp_gt_u32_e64 s[18:19], 8, v17
	v_ffbh_u32_e32 v17, v27
	v_min_u32_e32 v17, 32, v17
	v_subrev_u32_e32 v29, 28, v17
	v_lshlrev_b64 v[29:30], v29, v[18:19]
	v_sub_u32_e32 v17, 29, v17
	v_and_b32_e32 v29, 7, v29
	v_cndmask_b32_e64 v17, v33, v17, s[18:19]
	v_cndmask_b32_e64 v27, v27, v29, s[18:19]
	v_lshlrev_b32_e32 v18, 24, v18
	v_lshlrev_b32_e32 v27, 20, v27
	v_and_b32_e32 v18, 0x80000000, v18
	v_lshl_add_u32 v17, v17, 23, v26
	v_or3_b32 v27, v18, v17, v27
.LBB0_658:                              ;   in Loop: Header=BB0_505 Depth=2
	s_or_b64 exec, exec, s[78:79]
.LBB0_659:                              ;   in Loop: Header=BB0_505 Depth=2
	s_or_b64 exec, exec, s[76:77]
.LBB0_660:                              ;   in Loop: Header=BB0_505 Depth=2
	s_or_b64 exec, exec, s[74:75]
	v_cmp_lt_u32_e64 s[18:19], s49, v40
	s_and_saveexec_b64 s[74:75], s[18:19]
	s_cbranch_execz .LBB0_666
; %bb.661:                              ;   in Loop: Header=BB0_505 Depth=2
	v_cmp_ne_u32_sdwa s[18:19], v40, s38 src0_sel:BYTE_3 src1_sel:DWORD
	v_bfrev_b32_e32 v28, 1
	s_and_saveexec_b64 s[76:77], s[18:19]
	s_cbranch_execz .LBB0_665
; %bb.662:                              ;   in Loop: Header=BB0_505 Depth=2
	v_bfe_u32 v17, v40, 24, 7
	v_cmp_ne_u32_e64 s[18:19], s39, v17
	v_mov_b32_e32 v28, 0x7f800001
	s_and_saveexec_b64 s[78:79], s[18:19]
	s_cbranch_execz .LBB0_664
; %bb.663:                              ;   in Loop: Header=BB0_505 Depth=2
	v_and_b32_e32 v28, 7, v0
	v_lshrrev_b32_e32 v29, 3, v17
	v_cmp_gt_u32_e64 s[18:19], 8, v17
	v_ffbh_u32_e32 v17, v28
	v_min_u32_e32 v30, 32, v17
	v_subrev_u32_e32 v17, 28, v30
	v_lshlrev_b64 v[17:18], v17, v[0:1]
	v_sub_u32_e32 v0, 29, v30
	v_and_b32_e32 v17, 7, v17
	v_cndmask_b32_e64 v0, v29, v0, s[18:19]
	v_cndmask_b32_e64 v17, v28, v17, s[18:19]
	v_lshlrev_b32_sdwa v18, v54, v40 dst_sel:DWORD dst_unused:UNUSED_PAD src0_sel:DWORD src1_sel:BYTE_3
	v_lshlrev_b32_e32 v17, 20, v17
	v_and_b32_e32 v18, 0x80000000, v18
	v_lshl_add_u32 v0, v0, 23, v26
	v_or3_b32 v28, v18, v0, v17
.LBB0_664:                              ;   in Loop: Header=BB0_505 Depth=2
	s_or_b64 exec, exec, s[78:79]
.LBB0_665:                              ;   in Loop: Header=BB0_505 Depth=2
	s_or_b64 exec, exec, s[76:77]
.LBB0_666:                              ;   in Loop: Header=BB0_505 Depth=2
	s_or_b64 exec, exec, s[74:75]
	v_max_f32_e32 v0, v28, v28
	v_max_f32_e32 v17, v27, v27
	;; [unrolled: 1-line block ×3, first 2 shown]
                                        ; implicit-def: $vgpr18
                                        ; implicit-def: $vgpr0
.LBB0_667:                              ;   in Loop: Header=BB0_505 Depth=2
	s_andn2_saveexec_b64 s[18:19], s[72:73]
	s_cbranch_execz .LBB0_681
; %bb.668:                              ;   in Loop: Header=BB0_505 Depth=2
	v_mov_b32_e32 v28, 0
	v_mov_b32_e32 v27, 0
	s_and_saveexec_b64 s[72:73], vcc
	s_cbranch_execz .LBB0_674
; %bb.669:                              ;   in Loop: Header=BB0_505 Depth=2
	v_cmp_ne_u32_e32 vcc, s38, v18
	v_bfrev_b32_e32 v27, 1
	s_and_saveexec_b64 s[74:75], vcc
	s_cbranch_execz .LBB0_673
; %bb.670:                              ;   in Loop: Header=BB0_505 Depth=2
	v_bfe_u32 v17, v17, 24, 7
	v_cmp_ne_u32_e32 vcc, s39, v17
	v_mov_b32_e32 v27, 0x7f800001
	s_and_saveexec_b64 s[76:77], vcc
	s_cbranch_execz .LBB0_672
; %bb.671:                              ;   in Loop: Header=BB0_505 Depth=2
	v_and_b32_e32 v27, 7, v18
	v_lshrrev_b32_e32 v33, 3, v17
	v_cmp_gt_u32_e32 vcc, 8, v17
	v_ffbh_u32_e32 v17, v27
	v_min_u32_e32 v17, 32, v17
	v_subrev_u32_e32 v29, 28, v17
	v_lshlrev_b64 v[29:30], v29, v[18:19]
	v_sub_u32_e32 v17, 29, v17
	v_and_b32_e32 v29, 7, v29
	v_cndmask_b32_e32 v17, v33, v17, vcc
	v_cndmask_b32_e32 v27, v27, v29, vcc
	v_lshlrev_b32_e32 v18, 24, v18
	v_lshlrev_b32_e32 v27, 20, v27
	v_and_b32_e32 v18, 0x80000000, v18
	v_lshl_add_u32 v17, v17, 23, v26
	v_or3_b32 v27, v18, v17, v27
.LBB0_672:                              ;   in Loop: Header=BB0_505 Depth=2
	s_or_b64 exec, exec, s[76:77]
.LBB0_673:                              ;   in Loop: Header=BB0_505 Depth=2
	s_or_b64 exec, exec, s[74:75]
.LBB0_674:                              ;   in Loop: Header=BB0_505 Depth=2
	s_or_b64 exec, exec, s[72:73]
	v_cmp_lt_u32_e32 vcc, s49, v40
	s_and_saveexec_b64 s[72:73], vcc
	s_cbranch_execz .LBB0_680
; %bb.675:                              ;   in Loop: Header=BB0_505 Depth=2
	v_cmp_ne_u32_sdwa s[76:77], v40, s38 src0_sel:BYTE_3 src1_sel:DWORD
	v_bfrev_b32_e32 v28, 1
	s_and_saveexec_b64 s[74:75], s[76:77]
	s_cbranch_execz .LBB0_679
; %bb.676:                              ;   in Loop: Header=BB0_505 Depth=2
	v_bfe_u32 v17, v40, 24, 7
	v_cmp_ne_u32_e32 vcc, s39, v17
	v_mov_b32_e32 v28, 0x7f800001
	s_and_saveexec_b64 s[76:77], vcc
	s_cbranch_execz .LBB0_678
; %bb.677:                              ;   in Loop: Header=BB0_505 Depth=2
	v_and_b32_e32 v28, 7, v0
	v_lshrrev_b32_e32 v29, 3, v17
	v_cmp_gt_u32_e32 vcc, 8, v17
	v_ffbh_u32_e32 v17, v28
	v_min_u32_e32 v30, 32, v17
	v_subrev_u32_e32 v17, 28, v30
	v_lshlrev_b64 v[17:18], v17, v[0:1]
	v_sub_u32_e32 v0, 29, v30
	v_and_b32_e32 v17, 7, v17
	v_cndmask_b32_e32 v0, v29, v0, vcc
	v_cndmask_b32_e32 v17, v28, v17, vcc
	v_lshlrev_b32_sdwa v18, v54, v40 dst_sel:DWORD dst_unused:UNUSED_PAD src0_sel:DWORD src1_sel:BYTE_3
	v_lshlrev_b32_e32 v17, 20, v17
	v_and_b32_e32 v18, 0x80000000, v18
	v_lshl_add_u32 v0, v0, 23, v26
	v_or3_b32 v28, v18, v0, v17
.LBB0_678:                              ;   in Loop: Header=BB0_505 Depth=2
	s_or_b64 exec, exec, s[76:77]
.LBB0_679:                              ;   in Loop: Header=BB0_505 Depth=2
	s_or_b64 exec, exec, s[74:75]
.LBB0_680:                              ;   in Loop: Header=BB0_505 Depth=2
	s_or_b64 exec, exec, s[72:73]
	v_max_f32_e32 v0, v28, v28
	v_max_f32_e32 v17, v27, v27
	v_min_f32_e32 v27, v17, v0
.LBB0_681:                              ;   in Loop: Header=BB0_505 Depth=2
	s_or_b64 exec, exec, s[18:19]
	v_and_b32_e32 v40, 0x7f800000, v27
	v_cmp_ne_u64_e32 vcc, s[56:57], v[40:41]
                                        ; implicit-def: $vgpr29
	s_and_saveexec_b64 s[18:19], vcc
	s_xor_b64 s[72:73], exec, s[18:19]
	s_cbranch_execz .LBB0_695
; %bb.682:                              ;   in Loop: Header=BB0_505 Depth=2
	v_and_b32_e32 v40, 0x7fffffff, v27
	v_cmp_gt_u64_e32 vcc, s[58:59], v[40:41]
	v_and_b32_sdwa v0, v27, s38 dst_sel:DWORD dst_unused:UNUSED_PAD src0_sel:BYTE_3 src1_sel:DWORD
                                        ; implicit-def: $vgpr29
	s_and_saveexec_b64 s[18:19], vcc
	s_xor_b64 s[74:75], exec, s[18:19]
	s_cbranch_execz .LBB0_692
; %bb.683:                              ;   in Loop: Header=BB0_505 Depth=2
	v_mov_b32_e32 v29, 0
	v_cmp_ne_u32_e32 vcc, 0, v27
	s_and_saveexec_b64 s[76:77], vcc
	s_cbranch_execz .LBB0_691
; %bb.684:                              ;   in Loop: Header=BB0_505 Depth=2
	v_bfe_u32 v29, v27, 23, 8
	v_cmp_gt_u32_e64 s[18:19], s48, v29
	v_sub_u32_e32 v18, 0x79, v29
	v_and_b32_e32 v17, 0x7fffff, v27
	v_cmp_eq_u32_e32 vcc, 0, v29
	v_cndmask_b32_e64 v18, 0, v18, s[18:19]
	v_or_b32_e32 v27, 0x800000, v17
	v_cndmask_b32_e32 v30, v18, v7, vcc
	v_cndmask_b32_e32 v40, v27, v17, vcc
	v_add_u32_e32 v17, 20, v30
	v_lshlrev_b64 v[17:18], v17, -1
	v_add_u32_e32 v27, 19, v30
	v_lshlrev_b64 v[27:28], v27, 1
	v_bfi_b32 v18, v18, 0, 0
	v_bfi_b32 v17, v17, 0, v40
	v_cmp_eq_u64_e64 s[18:19], v[17:18], v[27:28]
	v_lshrrev_b64 v[17:18], v30, v[40:41]
	v_mov_b32_e32 v28, v18
	v_mov_b32_e32 v27, v17
	s_and_saveexec_b64 s[78:79], s[18:19]
; %bb.685:                              ;   in Loop: Header=BB0_505 Depth=2
	v_bfe_u32 v18, v17, 20, 1
	v_add_co_u32_e64 v18, s[18:19], v17, v18
	v_add_co_u32_e64 v27, s[18:19], -1, v18
; %bb.686:                              ;   in Loop: Header=BB0_505 Depth=2
	s_or_b64 exec, exec, s[78:79]
	v_add_u32_e32 v18, 0xffffff81, v29
	v_cndmask_b32_e32 v18, v18, v8, vcc
	v_lshrrev_b32_e32 v28, 23, v17
	v_add3_u32 v29, v30, v18, v28
	v_add_u32_e32 v28, 6, v29
	v_and_b32_e32 v18, 0xfffff, v27
	v_add_u32_e32 v40, v18, v17
	v_cmp_ne_u32_e32 vcc, 0, v28
                                        ; implicit-def: $vgpr17_vgpr18
                                        ; implicit-def: $vgpr27
	s_and_saveexec_b64 s[18:19], vcc
	s_xor_b64 s[18:19], exec, s[18:19]
; %bb.687:                              ;   in Loop: Header=BB0_505 Depth=2
	v_cmp_lt_u64_e32 vcc, s[60:61], v[40:41]
	v_add_u32_e32 v17, 7, v29
	v_cndmask_b32_e32 v27, v28, v17, vcc
	v_cndmask_b32_e64 v17, 0, 1, vcc
	v_lshrrev_b64 v[17:18], v17, v[40:41]
; %bb.688:                              ;   in Loop: Header=BB0_505 Depth=2
	s_andn2_saveexec_b64 s[18:19], s[18:19]
; %bb.689:                              ;   in Loop: Header=BB0_505 Depth=2
	v_mov_b32_e32 v17, v40
	v_bfe_u32 v27, v40, 23, 1
	v_mov_b32_e32 v18, v41
; %bb.690:                              ;   in Loop: Header=BB0_505 Depth=2
	s_or_b64 exec, exec, s[18:19]
	v_lshrrev_b64 v[17:18], 20, v[17:18]
	v_cmp_gt_i32_e32 vcc, 16, v27
	v_cndmask_b32_e32 v18, 0, v18, vcc
	v_cndmask_b32_e32 v17, 7, v17, vcc
	v_cmp_eq_u64_e64 s[18:19], 0, v[17:18]
	v_min_i32_e32 v18, 15, v27
	v_lshlrev_b32_e32 v18, 3, v18
	v_cmp_eq_u32_e32 vcc, 0, v27
	v_and_b32_e32 v18, 0xf8, v18
	v_and_or_b32 v17, v17, 7, v18
	s_and_b64 s[18:19], vcc, s[18:19]
	v_cndmask_b32_e64 v17, v17, 0, s[18:19]
	v_or_b32_e32 v29, v17, v0
.LBB0_691:                              ;   in Loop: Header=BB0_505 Depth=2
	s_or_b64 exec, exec, s[76:77]
                                        ; implicit-def: $vgpr0
.LBB0_692:                              ;   in Loop: Header=BB0_505 Depth=2
	s_andn2_saveexec_b64 s[18:19], s[74:75]
; %bb.693:                              ;   in Loop: Header=BB0_505 Depth=2
	v_or_b32_e32 v29, 0x7e, v0
; %bb.694:                              ;   in Loop: Header=BB0_505 Depth=2
	s_or_b64 exec, exec, s[18:19]
                                        ; implicit-def: $vgpr27
.LBB0_695:                              ;   in Loop: Header=BB0_505 Depth=2
	s_andn2_saveexec_b64 s[18:19], s[72:73]
; %bb.696:                              ;   in Loop: Header=BB0_505 Depth=2
	v_or_b32_sdwa v29, v27, s39 dst_sel:DWORD dst_unused:UNUSED_PAD src0_sel:BYTE_3 src1_sel:DWORD
; %bb.697:                              ;   in Loop: Header=BB0_505 Depth=2
	s_or_b64 exec, exec, s[18:19]
	v_alignbit_b32 v40, v25, v31, v20
	v_mov_b32_e32 v20, v41
	v_cmp_ne_u16_sdwa s[18:19], v19, v41 src0_sel:BYTE_0 src1_sel:DWORD
                                        ; implicit-def: $vgpr17
	s_and_saveexec_b64 s[72:73], s[14:15]
	s_xor_b64 s[72:73], exec, s[72:73]
	s_cbranch_execz .LBB0_711
; %bb.698:                              ;   in Loop: Header=BB0_505 Depth=2
	v_mov_b32_e32 v17, 0
	v_mov_b32_e32 v0, 0
	s_and_saveexec_b64 s[74:75], s[18:19]
	s_cbranch_execz .LBB0_704
; %bb.699:                              ;   in Loop: Header=BB0_505 Depth=2
	v_cmp_ne_u16_sdwa s[78:79], v19, s38 src0_sel:BYTE_0 src1_sel:DWORD
	v_bfrev_b32_e32 v0, 1
	s_and_saveexec_b64 s[76:77], s[78:79]
	s_cbranch_execz .LBB0_703
; %bb.700:                              ;   in Loop: Header=BB0_505 Depth=2
	v_and_b32_e32 v18, 0x7f, v19
	v_cmp_ne_u32_e32 vcc, s39, v18
	v_mov_b32_e32 v0, 0x7f800001
	s_and_saveexec_b64 s[78:79], vcc
	s_cbranch_execz .LBB0_702
; %bb.701:                              ;   in Loop: Header=BB0_505 Depth=2
	v_and_b32_e32 v0, 7, v19
	v_ffbh_u32_e32 v0, v0
	v_min_u32_e32 v0, 32, v0
	v_lshrrev_b32_e32 v25, 3, v18
	v_cmp_gt_u32_e32 vcc, 8, v18
	v_subrev_u32_e32 v18, 28, v0
	v_cndmask_b32_e32 v18, 0, v18, vcc
	v_lshlrev_b64 v[27:28], v18, v[19:20]
	v_sub_u32_e32 v0, 29, v0
	v_cndmask_b32_e32 v0, v25, v0, vcc
	v_lshlrev_b32_e32 v18, 20, v27
	v_lshlrev_b32_e32 v20, 24, v19
	v_and_b32_e32 v18, 0x700000, v18
	v_and_b32_e32 v20, 0x80000000, v20
	v_lshl_add_u32 v0, v0, 23, v26
	v_or3_b32 v0, v20, v0, v18
.LBB0_702:                              ;   in Loop: Header=BB0_505 Depth=2
	s_or_b64 exec, exec, s[78:79]
.LBB0_703:                              ;   in Loop: Header=BB0_505 Depth=2
	s_or_b64 exec, exec, s[76:77]
.LBB0_704:                              ;   in Loop: Header=BB0_505 Depth=2
	s_or_b64 exec, exec, s[74:75]
	v_cmp_ne_u16_sdwa s[76:77], v40, v41 src0_sel:BYTE_0 src1_sel:DWORD
	s_and_saveexec_b64 s[74:75], s[76:77]
	s_cbranch_execz .LBB0_710
; %bb.705:                              ;   in Loop: Header=BB0_505 Depth=2
	v_cmp_ne_u16_sdwa s[78:79], v40, s38 src0_sel:BYTE_0 src1_sel:DWORD
	v_bfrev_b32_e32 v17, 1
	s_and_saveexec_b64 s[76:77], s[78:79]
	s_cbranch_execz .LBB0_709
; %bb.706:                              ;   in Loop: Header=BB0_505 Depth=2
	v_and_b32_e32 v18, 0x7f, v40
	v_cmp_ne_u32_e32 vcc, s39, v18
	v_mov_b32_e32 v17, 0x7f800001
	s_and_saveexec_b64 s[78:79], vcc
	s_cbranch_execz .LBB0_708
; %bb.707:                              ;   in Loop: Header=BB0_505 Depth=2
	v_and_b32_e32 v17, 7, v40
	v_ffbh_u32_e32 v17, v17
	v_min_u32_e32 v17, 32, v17
	v_lshrrev_b32_e32 v20, 3, v18
	v_cmp_gt_u32_e32 vcc, 8, v18
	v_subrev_u32_e32 v18, 28, v17
	v_sub_u32_e32 v17, 29, v17
	v_cndmask_b32_e32 v20, v20, v17, vcc
	v_cndmask_b32_e32 v17, 0, v18, vcc
	v_lshlrev_b64 v[17:18], v17, v[40:41]
	v_lshlrev_b32_e32 v18, 24, v40
	v_lshlrev_b32_e32 v17, 20, v17
	v_and_b32_e32 v17, 0x700000, v17
	v_and_b32_e32 v18, 0x80000000, v18
	v_lshl_add_u32 v20, v20, 23, v26
	v_or3_b32 v17, v18, v20, v17
.LBB0_708:                              ;   in Loop: Header=BB0_505 Depth=2
	s_or_b64 exec, exec, s[78:79]
.LBB0_709:                              ;   in Loop: Header=BB0_505 Depth=2
	s_or_b64 exec, exec, s[76:77]
.LBB0_710:                              ;   in Loop: Header=BB0_505 Depth=2
	s_or_b64 exec, exec, s[74:75]
	v_max_f32_e32 v17, v17, v17
	v_max_f32_e32 v0, v0, v0
	;; [unrolled: 1-line block ×3, first 2 shown]
.LBB0_711:                              ;   in Loop: Header=BB0_505 Depth=2
	s_andn2_saveexec_b64 s[72:73], s[72:73]
	s_cbranch_execz .LBB0_725
; %bb.712:                              ;   in Loop: Header=BB0_505 Depth=2
	v_mov_b32_e32 v17, 0
	v_mov_b32_e32 v0, 0
	s_and_saveexec_b64 s[74:75], s[18:19]
	s_cbranch_execz .LBB0_718
; %bb.713:                              ;   in Loop: Header=BB0_505 Depth=2
	v_cmp_ne_u16_sdwa s[76:77], v19, s38 src0_sel:BYTE_0 src1_sel:DWORD
	v_bfrev_b32_e32 v0, 1
	s_and_saveexec_b64 s[18:19], s[76:77]
	s_cbranch_execz .LBB0_717
; %bb.714:                              ;   in Loop: Header=BB0_505 Depth=2
	v_and_b32_e32 v18, 0x7f, v19
	v_cmp_ne_u32_e32 vcc, s39, v18
	v_mov_b32_e32 v0, 0x7f800001
	s_and_saveexec_b64 s[76:77], vcc
	s_cbranch_execz .LBB0_716
; %bb.715:                              ;   in Loop: Header=BB0_505 Depth=2
	v_and_b32_e32 v0, 7, v19
	v_ffbh_u32_e32 v0, v0
	v_min_u32_e32 v0, 32, v0
	v_lshrrev_b32_e32 v25, 3, v18
	v_cmp_gt_u32_e32 vcc, 8, v18
	v_subrev_u32_e32 v18, 28, v0
	v_cndmask_b32_e32 v18, 0, v18, vcc
	v_lshlrev_b64 v[27:28], v18, v[19:20]
	v_sub_u32_e32 v0, 29, v0
	v_cndmask_b32_e32 v0, v25, v0, vcc
	v_lshlrev_b32_e32 v18, 20, v27
	v_lshlrev_b32_e32 v20, 24, v19
	v_and_b32_e32 v18, 0x700000, v18
	v_and_b32_e32 v20, 0x80000000, v20
	v_lshl_add_u32 v0, v0, 23, v26
	v_or3_b32 v0, v20, v0, v18
.LBB0_716:                              ;   in Loop: Header=BB0_505 Depth=2
	s_or_b64 exec, exec, s[76:77]
.LBB0_717:                              ;   in Loop: Header=BB0_505 Depth=2
	s_or_b64 exec, exec, s[18:19]
.LBB0_718:                              ;   in Loop: Header=BB0_505 Depth=2
	s_or_b64 exec, exec, s[74:75]
	v_cmp_ne_u16_sdwa s[74:75], v40, v41 src0_sel:BYTE_0 src1_sel:DWORD
	s_and_saveexec_b64 s[18:19], s[74:75]
	s_cbranch_execz .LBB0_724
; %bb.719:                              ;   in Loop: Header=BB0_505 Depth=2
	v_cmp_ne_u16_sdwa s[76:77], v40, s38 src0_sel:BYTE_0 src1_sel:DWORD
	v_bfrev_b32_e32 v17, 1
	s_and_saveexec_b64 s[74:75], s[76:77]
	s_cbranch_execz .LBB0_723
; %bb.720:                              ;   in Loop: Header=BB0_505 Depth=2
	v_and_b32_e32 v18, 0x7f, v40
	v_cmp_ne_u32_e32 vcc, s39, v18
	v_mov_b32_e32 v17, 0x7f800001
	s_and_saveexec_b64 s[76:77], vcc
	s_cbranch_execz .LBB0_722
; %bb.721:                              ;   in Loop: Header=BB0_505 Depth=2
	v_and_b32_e32 v17, 7, v40
	v_ffbh_u32_e32 v17, v17
	v_min_u32_e32 v17, 32, v17
	v_lshrrev_b32_e32 v20, 3, v18
	v_cmp_gt_u32_e32 vcc, 8, v18
	v_subrev_u32_e32 v18, 28, v17
	v_sub_u32_e32 v17, 29, v17
	v_cndmask_b32_e32 v20, v20, v17, vcc
	v_cndmask_b32_e32 v17, 0, v18, vcc
	v_lshlrev_b64 v[17:18], v17, v[40:41]
	v_lshlrev_b32_e32 v18, 24, v40
	v_lshlrev_b32_e32 v17, 20, v17
	v_and_b32_e32 v17, 0x700000, v17
	v_and_b32_e32 v18, 0x80000000, v18
	v_lshl_add_u32 v20, v20, 23, v26
	v_or3_b32 v17, v18, v20, v17
.LBB0_722:                              ;   in Loop: Header=BB0_505 Depth=2
	s_or_b64 exec, exec, s[76:77]
.LBB0_723:                              ;   in Loop: Header=BB0_505 Depth=2
	s_or_b64 exec, exec, s[74:75]
.LBB0_724:                              ;   in Loop: Header=BB0_505 Depth=2
	s_or_b64 exec, exec, s[18:19]
	v_max_f32_e32 v17, v17, v17
	v_max_f32_e32 v0, v0, v0
	v_min_f32_e32 v17, v0, v17
.LBB0_725:                              ;   in Loop: Header=BB0_505 Depth=2
	s_or_b64 exec, exec, s[72:73]
	v_and_b32_e32 v27, 0x7f800000, v17
	v_mov_b32_e32 v28, v41
	v_cmp_ne_u64_e32 vcc, s[56:57], v[27:28]
                                        ; implicit-def: $vgpr25
	s_and_saveexec_b64 s[18:19], vcc
	s_xor_b64 s[72:73], exec, s[18:19]
	s_cbranch_execz .LBB0_739
; %bb.726:                              ;   in Loop: Header=BB0_505 Depth=2
	v_and_b32_e32 v27, 0x7fffffff, v17
	v_mov_b32_e32 v28, v41
	v_cmp_gt_u64_e32 vcc, s[58:59], v[27:28]
	v_and_b32_sdwa v0, v17, s38 dst_sel:DWORD dst_unused:UNUSED_PAD src0_sel:BYTE_3 src1_sel:DWORD
                                        ; implicit-def: $vgpr25
	s_and_saveexec_b64 s[18:19], vcc
	s_xor_b64 s[74:75], exec, s[18:19]
	s_cbranch_execz .LBB0_736
; %bb.727:                              ;   in Loop: Header=BB0_505 Depth=2
	v_mov_b32_e32 v25, 0
	v_cmp_ne_u32_e32 vcc, 0, v17
	s_and_saveexec_b64 s[76:77], vcc
	s_cbranch_execz .LBB0_735
; %bb.728:                              ;   in Loop: Header=BB0_505 Depth=2
	v_bfe_u32 v20, v17, 23, 8
	v_and_b32_e32 v18, 0x7fffff, v17
	v_cmp_gt_u32_e64 s[18:19], s48, v20
	v_sub_u32_e32 v17, 0x79, v20
	v_cmp_eq_u32_e32 vcc, 0, v20
	v_cndmask_b32_e64 v17, 0, v17, s[18:19]
	v_or_b32_e32 v27, 0x800000, v18
	v_cndmask_b32_e32 v25, v17, v7, vcc
	v_cndmask_b32_e32 v17, v27, v18, vcc
	v_add_u32_e32 v27, 20, v25
	v_lshlrev_b64 v[27:28], v27, -1
	v_mov_b32_e32 v18, v41
	v_add_u32_e32 v30, 19, v25
	v_bfi_b32 v27, v27, 0, v17
	v_lshlrev_b64 v[30:31], v30, 1
	v_lshrrev_b64 v[17:18], v25, v[17:18]
	v_bfi_b32 v28, v28, 0, 0
	v_cmp_eq_u64_e64 s[18:19], v[27:28], v[30:31]
	v_mov_b32_e32 v28, v18
	v_mov_b32_e32 v27, v17
	s_and_saveexec_b64 s[78:79], s[18:19]
; %bb.729:                              ;   in Loop: Header=BB0_505 Depth=2
	v_bfe_u32 v18, v17, 20, 1
	v_add_co_u32_e64 v18, s[18:19], v17, v18
	v_add_co_u32_e64 v27, s[18:19], -1, v18
; %bb.730:                              ;   in Loop: Header=BB0_505 Depth=2
	s_or_b64 exec, exec, s[78:79]
	v_add_u32_e32 v18, 0xffffff81, v20
	v_cndmask_b32_e32 v18, v18, v8, vcc
	v_lshrrev_b32_e32 v20, 23, v17
	v_add3_u32 v28, v25, v18, v20
	v_add_u32_e32 v25, 6, v28
	v_and_b32_e32 v18, 0xfffff, v27
	v_add_u32_e32 v17, v18, v17
	v_mov_b32_e32 v18, v41
	v_cmp_ne_u32_e32 vcc, 0, v25
                                        ; implicit-def: $vgpr20
	s_and_saveexec_b64 s[18:19], vcc
	s_xor_b64 s[18:19], exec, s[18:19]
; %bb.731:                              ;   in Loop: Header=BB0_505 Depth=2
	v_cmp_lt_u64_e32 vcc, s[60:61], v[17:18]
	v_add_u32_e32 v20, 7, v28
	v_cndmask_b32_e32 v20, v25, v20, vcc
	v_cndmask_b32_e64 v25, 0, 1, vcc
	v_lshrrev_b64 v[17:18], v25, v[17:18]
; %bb.732:                              ;   in Loop: Header=BB0_505 Depth=2
	s_andn2_saveexec_b64 s[18:19], s[18:19]
; %bb.733:                              ;   in Loop: Header=BB0_505 Depth=2
	v_bfe_u32 v20, v17, 23, 1
; %bb.734:                              ;   in Loop: Header=BB0_505 Depth=2
	s_or_b64 exec, exec, s[18:19]
	v_lshrrev_b64 v[17:18], 20, v[17:18]
	v_cmp_gt_i32_e32 vcc, 16, v20
	v_cndmask_b32_e32 v18, 0, v18, vcc
	v_cndmask_b32_e32 v17, 7, v17, vcc
	v_cmp_eq_u64_e64 s[18:19], 0, v[17:18]
	v_min_i32_e32 v18, 15, v20
	v_lshlrev_b32_e32 v18, 3, v18
	v_cmp_eq_u32_e32 vcc, 0, v20
	v_and_b32_e32 v18, 0xf8, v18
	v_and_or_b32 v17, v17, 7, v18
	s_and_b64 s[18:19], vcc, s[18:19]
	v_cndmask_b32_e64 v17, v17, 0, s[18:19]
	v_or_b32_e32 v25, v17, v0
.LBB0_735:                              ;   in Loop: Header=BB0_505 Depth=2
	s_or_b64 exec, exec, s[76:77]
                                        ; implicit-def: $vgpr0
.LBB0_736:                              ;   in Loop: Header=BB0_505 Depth=2
	s_andn2_saveexec_b64 s[18:19], s[74:75]
; %bb.737:                              ;   in Loop: Header=BB0_505 Depth=2
	v_or_b32_e32 v25, 0x7e, v0
; %bb.738:                              ;   in Loop: Header=BB0_505 Depth=2
	s_or_b64 exec, exec, s[18:19]
                                        ; implicit-def: $vgpr17
.LBB0_739:                              ;   in Loop: Header=BB0_505 Depth=2
	s_andn2_saveexec_b64 s[18:19], s[72:73]
; %bb.740:                              ;   in Loop: Header=BB0_505 Depth=2
	v_or_b32_sdwa v25, v17, s39 dst_sel:DWORD dst_unused:UNUSED_PAD src0_sel:BYTE_3 src1_sel:DWORD
; %bb.741:                              ;   in Loop: Header=BB0_505 Depth=2
	s_or_b64 exec, exec, s[18:19]
	v_lshrrev_b16_e32 v17, 8, v19
	v_lshrrev_b16_e32 v0, 8, v40
	v_cmp_ne_u16_e32 vcc, 0, v17
                                        ; implicit-def: $vgpr18
	s_and_saveexec_b64 s[18:19], s[14:15]
	s_xor_b64 s[72:73], exec, s[18:19]
	s_cbranch_execz .LBB0_755
; %bb.742:                              ;   in Loop: Header=BB0_505 Depth=2
	v_mov_b32_e32 v20, 0
	v_mov_b32_e32 v18, 0
	s_and_saveexec_b64 s[74:75], vcc
	s_cbranch_execz .LBB0_748
; %bb.743:                              ;   in Loop: Header=BB0_505 Depth=2
	v_cmp_ne_u16_e64 s[18:19], s38, v17
	v_bfrev_b32_e32 v18, 1
	s_and_saveexec_b64 s[76:77], s[18:19]
	s_cbranch_execz .LBB0_747
; %bb.744:                              ;   in Loop: Header=BB0_505 Depth=2
	v_and_b32_e32 v27, 0x7f, v17
	v_cmp_ne_u32_e64 s[18:19], s39, v27
	v_mov_b32_e32 v18, 0x7f800001
	s_and_saveexec_b64 s[78:79], s[18:19]
	s_cbranch_execz .LBB0_746
; %bb.745:                              ;   in Loop: Header=BB0_505 Depth=2
	v_and_b32_e32 v28, 7, v17
	v_ffbh_u32_e32 v18, v28
	v_lshrrev_b32_e32 v30, 3, v27
	v_cmp_gt_u32_e64 s[18:19], 8, v27
	v_min_u32_e32 v27, 32, v18
	v_subrev_u32_e32 v18, 28, v27
	v_lshlrev_b64 v[17:18], v18, v[17:18]
	v_sub_u32_e32 v18, 29, v27
	v_and_b32_e32 v17, 7, v17
	v_cndmask_b32_e64 v18, v30, v18, s[18:19]
	v_cndmask_b32_e64 v17, v28, v17, s[18:19]
	v_lshlrev_b32_e32 v27, 16, v19
	v_lshlrev_b32_e32 v17, 20, v17
	v_and_b32_e32 v27, 0x80000000, v27
	v_lshl_add_u32 v18, v18, 23, v26
	v_or3_b32 v18, v27, v18, v17
.LBB0_746:                              ;   in Loop: Header=BB0_505 Depth=2
	s_or_b64 exec, exec, s[78:79]
.LBB0_747:                              ;   in Loop: Header=BB0_505 Depth=2
	s_or_b64 exec, exec, s[76:77]
.LBB0_748:                              ;   in Loop: Header=BB0_505 Depth=2
	s_or_b64 exec, exec, s[74:75]
	v_cmp_ne_u16_e64 s[18:19], 0, v0
	s_and_saveexec_b64 s[74:75], s[18:19]
	s_cbranch_execz .LBB0_754
; %bb.749:                              ;   in Loop: Header=BB0_505 Depth=2
	v_cmp_ne_u16_e64 s[18:19], s38, v0
	v_bfrev_b32_e32 v20, 1
	s_and_saveexec_b64 s[76:77], s[18:19]
	s_cbranch_execz .LBB0_753
; %bb.750:                              ;   in Loop: Header=BB0_505 Depth=2
	v_and_b32_e32 v17, 0x7f, v0
	v_cmp_ne_u32_e64 s[18:19], s39, v17
	v_mov_b32_e32 v20, 0x7f800001
	s_and_saveexec_b64 s[78:79], s[18:19]
	s_cbranch_execz .LBB0_752
; %bb.751:                              ;   in Loop: Header=BB0_505 Depth=2
	v_and_b32_e32 v20, 7, v0
	v_lshrrev_b32_e32 v30, 3, v17
	v_cmp_gt_u32_e64 s[18:19], 8, v17
	v_ffbh_u32_e32 v17, v20
	v_min_u32_e32 v17, 32, v17
	v_subrev_u32_e32 v27, 28, v17
	v_lshlrev_b64 v[27:28], v27, v[0:1]
	v_sub_u32_e32 v0, 29, v17
	v_and_b32_e32 v17, 7, v27
	v_cndmask_b32_e64 v0, v30, v0, s[18:19]
	v_cndmask_b32_e64 v17, v20, v17, s[18:19]
	v_lshlrev_b32_e32 v20, 16, v40
	v_lshlrev_b32_e32 v17, 20, v17
	v_and_b32_e32 v20, 0x80000000, v20
	v_lshl_add_u32 v0, v0, 23, v26
	v_or3_b32 v20, v20, v0, v17
.LBB0_752:                              ;   in Loop: Header=BB0_505 Depth=2
	s_or_b64 exec, exec, s[78:79]
.LBB0_753:                              ;   in Loop: Header=BB0_505 Depth=2
	s_or_b64 exec, exec, s[76:77]
.LBB0_754:                              ;   in Loop: Header=BB0_505 Depth=2
	s_or_b64 exec, exec, s[74:75]
	v_max_f32_e32 v0, v20, v20
	v_max_f32_e32 v17, v18, v18
	;; [unrolled: 1-line block ×3, first 2 shown]
                                        ; implicit-def: $vgpr0
                                        ; implicit-def: $vgpr17
.LBB0_755:                              ;   in Loop: Header=BB0_505 Depth=2
	s_andn2_saveexec_b64 s[18:19], s[72:73]
	s_cbranch_execz .LBB0_769
; %bb.756:                              ;   in Loop: Header=BB0_505 Depth=2
	v_mov_b32_e32 v20, 0
	v_mov_b32_e32 v18, 0
	s_and_saveexec_b64 s[72:73], vcc
	s_cbranch_execz .LBB0_762
; %bb.757:                              ;   in Loop: Header=BB0_505 Depth=2
	v_cmp_ne_u16_e32 vcc, s38, v17
	v_bfrev_b32_e32 v18, 1
	s_and_saveexec_b64 s[74:75], vcc
	s_cbranch_execz .LBB0_761
; %bb.758:                              ;   in Loop: Header=BB0_505 Depth=2
	v_and_b32_e32 v27, 0x7f, v17
	v_cmp_ne_u32_e32 vcc, s39, v27
	v_mov_b32_e32 v18, 0x7f800001
	s_and_saveexec_b64 s[76:77], vcc
	s_cbranch_execz .LBB0_760
; %bb.759:                              ;   in Loop: Header=BB0_505 Depth=2
	v_and_b32_e32 v28, 7, v17
	v_ffbh_u32_e32 v18, v28
	v_lshrrev_b32_e32 v30, 3, v27
	v_cmp_gt_u32_e32 vcc, 8, v27
	v_min_u32_e32 v27, 32, v18
	v_subrev_u32_e32 v18, 28, v27
	v_lshlrev_b64 v[17:18], v18, v[17:18]
	v_sub_u32_e32 v18, 29, v27
	v_and_b32_e32 v17, 7, v17
	v_cndmask_b32_e32 v18, v30, v18, vcc
	v_cndmask_b32_e32 v17, v28, v17, vcc
	v_lshlrev_b32_e32 v27, 16, v19
	v_lshlrev_b32_e32 v17, 20, v17
	v_and_b32_e32 v27, 0x80000000, v27
	v_lshl_add_u32 v18, v18, 23, v26
	v_or3_b32 v18, v27, v18, v17
.LBB0_760:                              ;   in Loop: Header=BB0_505 Depth=2
	s_or_b64 exec, exec, s[76:77]
.LBB0_761:                              ;   in Loop: Header=BB0_505 Depth=2
	s_or_b64 exec, exec, s[74:75]
.LBB0_762:                              ;   in Loop: Header=BB0_505 Depth=2
	s_or_b64 exec, exec, s[72:73]
	v_cmp_ne_u16_e32 vcc, 0, v0
	s_and_saveexec_b64 s[72:73], vcc
	s_cbranch_execz .LBB0_768
; %bb.763:                              ;   in Loop: Header=BB0_505 Depth=2
	v_cmp_ne_u16_e32 vcc, s38, v0
	v_bfrev_b32_e32 v20, 1
	s_and_saveexec_b64 s[74:75], vcc
	s_cbranch_execz .LBB0_767
; %bb.764:                              ;   in Loop: Header=BB0_505 Depth=2
	v_and_b32_e32 v17, 0x7f, v0
	v_cmp_ne_u32_e32 vcc, s39, v17
	v_mov_b32_e32 v20, 0x7f800001
	s_and_saveexec_b64 s[76:77], vcc
	s_cbranch_execz .LBB0_766
; %bb.765:                              ;   in Loop: Header=BB0_505 Depth=2
	v_and_b32_e32 v20, 7, v0
	v_lshrrev_b32_e32 v30, 3, v17
	v_cmp_gt_u32_e32 vcc, 8, v17
	v_ffbh_u32_e32 v17, v20
	v_min_u32_e32 v17, 32, v17
	v_subrev_u32_e32 v27, 28, v17
	v_lshlrev_b64 v[27:28], v27, v[0:1]
	v_sub_u32_e32 v0, 29, v17
	v_and_b32_e32 v17, 7, v27
	v_cndmask_b32_e32 v0, v30, v0, vcc
	v_cndmask_b32_e32 v17, v20, v17, vcc
	v_lshlrev_b32_e32 v20, 16, v40
	v_lshlrev_b32_e32 v17, 20, v17
	v_and_b32_e32 v20, 0x80000000, v20
	v_lshl_add_u32 v0, v0, 23, v26
	v_or3_b32 v20, v20, v0, v17
.LBB0_766:                              ;   in Loop: Header=BB0_505 Depth=2
	s_or_b64 exec, exec, s[76:77]
.LBB0_767:                              ;   in Loop: Header=BB0_505 Depth=2
	s_or_b64 exec, exec, s[74:75]
.LBB0_768:                              ;   in Loop: Header=BB0_505 Depth=2
	s_or_b64 exec, exec, s[72:73]
	v_max_f32_e32 v0, v20, v20
	v_max_f32_e32 v17, v18, v18
	v_min_f32_e32 v18, v17, v0
.LBB0_769:                              ;   in Loop: Header=BB0_505 Depth=2
	s_or_b64 exec, exec, s[18:19]
	v_and_b32_e32 v27, 0x7f800000, v18
	v_mov_b32_e32 v28, v41
	v_cmp_ne_u64_e32 vcc, s[56:57], v[27:28]
                                        ; implicit-def: $vgpr30
	s_and_saveexec_b64 s[18:19], vcc
	s_xor_b64 s[72:73], exec, s[18:19]
	s_cbranch_execz .LBB0_783
; %bb.770:                              ;   in Loop: Header=BB0_505 Depth=2
	v_and_b32_e32 v27, 0x7fffffff, v18
	v_mov_b32_e32 v28, v41
	v_cmp_gt_u64_e32 vcc, s[58:59], v[27:28]
	v_and_b32_sdwa v0, v18, s38 dst_sel:DWORD dst_unused:UNUSED_PAD src0_sel:BYTE_3 src1_sel:DWORD
                                        ; implicit-def: $vgpr30
	s_and_saveexec_b64 s[18:19], vcc
	s_xor_b64 s[74:75], exec, s[18:19]
	s_cbranch_execz .LBB0_780
; %bb.771:                              ;   in Loop: Header=BB0_505 Depth=2
	v_mov_b32_e32 v30, 0
	v_cmp_ne_u32_e32 vcc, 0, v18
	s_and_saveexec_b64 s[76:77], vcc
	s_cbranch_execz .LBB0_779
; %bb.772:                              ;   in Loop: Header=BB0_505 Depth=2
	v_bfe_u32 v20, v18, 23, 8
	v_and_b32_e32 v17, 0x7fffff, v18
	v_cmp_gt_u32_e64 s[18:19], s48, v20
	v_sub_u32_e32 v18, 0x79, v20
	v_cmp_eq_u32_e32 vcc, 0, v20
	v_cndmask_b32_e64 v18, 0, v18, s[18:19]
	v_or_b32_e32 v27, 0x800000, v17
	v_cndmask_b32_e32 v30, v18, v7, vcc
	v_cndmask_b32_e32 v17, v27, v17, vcc
	v_add_u32_e32 v27, 20, v30
	v_lshlrev_b64 v[27:28], v27, -1
	v_mov_b32_e32 v18, v41
	v_add_u32_e32 v31, 19, v30
	v_bfi_b32 v27, v27, 0, v17
	v_lshlrev_b64 v[44:45], v31, 1
	v_lshrrev_b64 v[17:18], v30, v[17:18]
	v_bfi_b32 v28, v28, 0, 0
	v_cmp_eq_u64_e64 s[18:19], v[27:28], v[44:45]
	v_mov_b32_e32 v28, v18
	v_mov_b32_e32 v27, v17
	s_and_saveexec_b64 s[78:79], s[18:19]
; %bb.773:                              ;   in Loop: Header=BB0_505 Depth=2
	v_bfe_u32 v18, v17, 20, 1
	v_add_co_u32_e64 v18, s[18:19], v17, v18
	v_add_co_u32_e64 v27, s[18:19], -1, v18
; %bb.774:                              ;   in Loop: Header=BB0_505 Depth=2
	s_or_b64 exec, exec, s[78:79]
	v_add_u32_e32 v18, 0xffffff81, v20
	v_cndmask_b32_e32 v18, v18, v8, vcc
	v_lshrrev_b32_e32 v20, 23, v17
	v_add3_u32 v30, v30, v18, v20
	v_add_u32_e32 v28, 6, v30
	v_and_b32_e32 v18, 0xfffff, v27
	v_add_u32_e32 v17, v18, v17
	v_mov_b32_e32 v18, v41
	v_cmp_ne_u32_e32 vcc, 0, v28
                                        ; implicit-def: $vgpr20
	s_and_saveexec_b64 s[18:19], vcc
	s_xor_b64 s[18:19], exec, s[18:19]
; %bb.775:                              ;   in Loop: Header=BB0_505 Depth=2
	v_cmp_lt_u64_e32 vcc, s[60:61], v[17:18]
	v_add_u32_e32 v20, 7, v30
	v_cndmask_b32_e64 v27, 0, 1, vcc
	v_cndmask_b32_e32 v20, v28, v20, vcc
	v_lshrrev_b64 v[17:18], v27, v[17:18]
; %bb.776:                              ;   in Loop: Header=BB0_505 Depth=2
	s_andn2_saveexec_b64 s[18:19], s[18:19]
; %bb.777:                              ;   in Loop: Header=BB0_505 Depth=2
	v_bfe_u32 v20, v17, 23, 1
; %bb.778:                              ;   in Loop: Header=BB0_505 Depth=2
	s_or_b64 exec, exec, s[18:19]
	v_lshrrev_b64 v[17:18], 20, v[17:18]
	v_cmp_gt_i32_e32 vcc, 16, v20
	v_cndmask_b32_e32 v18, 0, v18, vcc
	v_cndmask_b32_e32 v17, 7, v17, vcc
	v_cmp_eq_u64_e64 s[18:19], 0, v[17:18]
	v_min_i32_e32 v18, 15, v20
	v_lshlrev_b32_e32 v18, 3, v18
	v_cmp_eq_u32_e32 vcc, 0, v20
	v_and_b32_e32 v18, 0xf8, v18
	v_and_or_b32 v17, v17, 7, v18
	s_and_b64 s[18:19], vcc, s[18:19]
	v_cndmask_b32_e64 v17, v17, 0, s[18:19]
	v_or_b32_e32 v30, v17, v0
.LBB0_779:                              ;   in Loop: Header=BB0_505 Depth=2
	s_or_b64 exec, exec, s[76:77]
                                        ; implicit-def: $vgpr0
.LBB0_780:                              ;   in Loop: Header=BB0_505 Depth=2
	s_andn2_saveexec_b64 s[18:19], s[74:75]
; %bb.781:                              ;   in Loop: Header=BB0_505 Depth=2
	v_or_b32_e32 v30, 0x7e, v0
; %bb.782:                              ;   in Loop: Header=BB0_505 Depth=2
	s_or_b64 exec, exec, s[18:19]
                                        ; implicit-def: $vgpr18
.LBB0_783:                              ;   in Loop: Header=BB0_505 Depth=2
	s_andn2_saveexec_b64 s[18:19], s[72:73]
; %bb.784:                              ;   in Loop: Header=BB0_505 Depth=2
	v_or_b32_sdwa v30, v18, s39 dst_sel:DWORD dst_unused:UNUSED_PAD src0_sel:BYTE_3 src1_sel:DWORD
; %bb.785:                              ;   in Loop: Header=BB0_505 Depth=2
	s_or_b64 exec, exec, s[18:19]
	v_lshrrev_b32_e32 v17, 16, v19
	v_lshrrev_b32_e32 v0, 16, v40
	v_cmp_ne_u16_sdwa s[18:19], v17, v41 src0_sel:BYTE_0 src1_sel:DWORD
                                        ; implicit-def: $vgpr18
	s_and_saveexec_b64 s[72:73], s[14:15]
	s_xor_b64 s[72:73], exec, s[72:73]
	s_cbranch_execz .LBB0_799
; %bb.786:                              ;   in Loop: Header=BB0_505 Depth=2
	v_mov_b32_e32 v20, 0
	v_mov_b32_e32 v18, 0
	s_and_saveexec_b64 s[74:75], s[18:19]
	s_cbranch_execz .LBB0_792
; %bb.787:                              ;   in Loop: Header=BB0_505 Depth=2
	v_cmp_ne_u16_sdwa s[78:79], v17, s38 src0_sel:BYTE_0 src1_sel:DWORD
	v_bfrev_b32_e32 v18, 1
	s_and_saveexec_b64 s[76:77], s[78:79]
	s_cbranch_execz .LBB0_791
; %bb.788:                              ;   in Loop: Header=BB0_505 Depth=2
	v_bfe_u32 v27, v19, 16, 7
	v_cmp_ne_u32_e32 vcc, s39, v27
	v_mov_b32_e32 v18, 0x7f800001
	s_and_saveexec_b64 s[78:79], vcc
	s_cbranch_execz .LBB0_790
; %bb.789:                              ;   in Loop: Header=BB0_505 Depth=2
	v_and_b32_e32 v18, 7, v17
	v_lshrrev_b32_e32 v31, 3, v27
	v_cmp_gt_u32_e32 vcc, 8, v27
	v_ffbh_u32_e32 v27, v18
	v_min_u32_e32 v33, 32, v27
	v_subrev_u32_e32 v27, 28, v33
	v_lshlrev_b64 v[27:28], v27, v[17:18]
	v_sub_u32_e32 v28, 29, v33
	v_and_b32_e32 v27, 7, v27
	v_cndmask_b32_e32 v28, v31, v28, vcc
	v_cndmask_b32_e32 v18, v18, v27, vcc
	v_lshlrev_b32_e32 v17, 24, v17
	v_lshlrev_b32_e32 v18, 20, v18
	v_and_b32_e32 v17, 0x80000000, v17
	v_lshl_add_u32 v27, v28, 23, v26
	v_or3_b32 v18, v17, v27, v18
.LBB0_790:                              ;   in Loop: Header=BB0_505 Depth=2
	s_or_b64 exec, exec, s[78:79]
.LBB0_791:                              ;   in Loop: Header=BB0_505 Depth=2
	s_or_b64 exec, exec, s[76:77]
.LBB0_792:                              ;   in Loop: Header=BB0_505 Depth=2
	s_or_b64 exec, exec, s[74:75]
	v_and_b32_sdwa v17, v40, s37 dst_sel:DWORD dst_unused:UNUSED_PAD src0_sel:WORD_1 src1_sel:DWORD
	v_cmp_ne_u16_e32 vcc, 0, v17
	s_and_saveexec_b64 s[74:75], vcc
	s_cbranch_execz .LBB0_798
; %bb.793:                              ;   in Loop: Header=BB0_505 Depth=2
	v_cmp_ne_u16_e32 vcc, s38, v17
	v_bfrev_b32_e32 v20, 1
	s_and_saveexec_b64 s[76:77], vcc
	s_cbranch_execz .LBB0_797
; %bb.794:                              ;   in Loop: Header=BB0_505 Depth=2
	v_bfe_u32 v17, v40, 16, 7
	v_cmp_ne_u32_e32 vcc, s39, v17
	v_mov_b32_e32 v20, 0x7f800001
	s_and_saveexec_b64 s[78:79], vcc
	s_cbranch_execz .LBB0_796
; %bb.795:                              ;   in Loop: Header=BB0_505 Depth=2
	v_and_b32_e32 v20, 7, v0
	v_lshrrev_b32_e32 v31, 3, v17
	v_cmp_gt_u32_e32 vcc, 8, v17
	v_ffbh_u32_e32 v17, v20
	v_min_u32_e32 v17, 32, v17
	v_subrev_u32_e32 v27, 28, v17
	v_lshlrev_b64 v[27:28], v27, v[0:1]
	v_sub_u32_e32 v0, 29, v17
	v_and_b32_e32 v17, 7, v27
	v_cndmask_b32_e32 v0, v31, v0, vcc
	v_cndmask_b32_e32 v17, v20, v17, vcc
	v_lshlrev_b32_sdwa v20, v54, v40 dst_sel:DWORD dst_unused:UNUSED_PAD src0_sel:DWORD src1_sel:WORD_1
	v_lshlrev_b32_e32 v17, 20, v17
	v_and_b32_e32 v20, 0x80000000, v20
	v_lshl_add_u32 v0, v0, 23, v26
	v_or3_b32 v20, v20, v0, v17
.LBB0_796:                              ;   in Loop: Header=BB0_505 Depth=2
	s_or_b64 exec, exec, s[78:79]
.LBB0_797:                              ;   in Loop: Header=BB0_505 Depth=2
	s_or_b64 exec, exec, s[76:77]
.LBB0_798:                              ;   in Loop: Header=BB0_505 Depth=2
	s_or_b64 exec, exec, s[74:75]
	v_max_f32_e32 v0, v20, v20
	v_max_f32_e32 v17, v18, v18
	;; [unrolled: 1-line block ×3, first 2 shown]
                                        ; implicit-def: $vgpr17
                                        ; implicit-def: $vgpr0
.LBB0_799:                              ;   in Loop: Header=BB0_505 Depth=2
	s_andn2_saveexec_b64 s[72:73], s[72:73]
	s_cbranch_execz .LBB0_813
; %bb.800:                              ;   in Loop: Header=BB0_505 Depth=2
	v_mov_b32_e32 v20, 0
	v_mov_b32_e32 v18, 0
	s_and_saveexec_b64 s[74:75], s[18:19]
	s_cbranch_execz .LBB0_806
; %bb.801:                              ;   in Loop: Header=BB0_505 Depth=2
	v_cmp_ne_u16_sdwa s[76:77], v17, s38 src0_sel:BYTE_0 src1_sel:DWORD
	v_bfrev_b32_e32 v18, 1
	s_and_saveexec_b64 s[18:19], s[76:77]
	s_cbranch_execz .LBB0_805
; %bb.802:                              ;   in Loop: Header=BB0_505 Depth=2
	v_bfe_u32 v27, v19, 16, 7
	v_cmp_ne_u32_e32 vcc, s39, v27
	v_mov_b32_e32 v18, 0x7f800001
	s_and_saveexec_b64 s[76:77], vcc
	s_cbranch_execz .LBB0_804
; %bb.803:                              ;   in Loop: Header=BB0_505 Depth=2
	v_and_b32_e32 v18, 7, v17
	v_lshrrev_b32_e32 v31, 3, v27
	v_cmp_gt_u32_e32 vcc, 8, v27
	v_ffbh_u32_e32 v27, v18
	v_min_u32_e32 v33, 32, v27
	v_subrev_u32_e32 v27, 28, v33
	v_lshlrev_b64 v[27:28], v27, v[17:18]
	v_sub_u32_e32 v28, 29, v33
	v_and_b32_e32 v27, 7, v27
	v_cndmask_b32_e32 v28, v31, v28, vcc
	v_cndmask_b32_e32 v18, v18, v27, vcc
	v_lshlrev_b32_e32 v17, 24, v17
	v_lshlrev_b32_e32 v18, 20, v18
	v_and_b32_e32 v17, 0x80000000, v17
	v_lshl_add_u32 v27, v28, 23, v26
	v_or3_b32 v18, v17, v27, v18
.LBB0_804:                              ;   in Loop: Header=BB0_505 Depth=2
	s_or_b64 exec, exec, s[76:77]
.LBB0_805:                              ;   in Loop: Header=BB0_505 Depth=2
	s_or_b64 exec, exec, s[18:19]
.LBB0_806:                              ;   in Loop: Header=BB0_505 Depth=2
	s_or_b64 exec, exec, s[74:75]
	v_and_b32_sdwa v17, v40, s37 dst_sel:DWORD dst_unused:UNUSED_PAD src0_sel:WORD_1 src1_sel:DWORD
	v_cmp_ne_u16_e32 vcc, 0, v17
	s_and_saveexec_b64 s[18:19], vcc
	s_cbranch_execz .LBB0_812
; %bb.807:                              ;   in Loop: Header=BB0_505 Depth=2
	v_cmp_ne_u16_e32 vcc, s38, v17
	v_bfrev_b32_e32 v20, 1
	s_and_saveexec_b64 s[74:75], vcc
	s_cbranch_execz .LBB0_811
; %bb.808:                              ;   in Loop: Header=BB0_505 Depth=2
	v_bfe_u32 v17, v40, 16, 7
	v_cmp_ne_u32_e32 vcc, s39, v17
	v_mov_b32_e32 v20, 0x7f800001
	s_and_saveexec_b64 s[76:77], vcc
	s_cbranch_execz .LBB0_810
; %bb.809:                              ;   in Loop: Header=BB0_505 Depth=2
	v_and_b32_e32 v20, 7, v0
	v_lshrrev_b32_e32 v31, 3, v17
	v_cmp_gt_u32_e32 vcc, 8, v17
	v_ffbh_u32_e32 v17, v20
	v_min_u32_e32 v17, 32, v17
	v_subrev_u32_e32 v27, 28, v17
	v_lshlrev_b64 v[27:28], v27, v[0:1]
	v_sub_u32_e32 v0, 29, v17
	v_and_b32_e32 v17, 7, v27
	v_cndmask_b32_e32 v0, v31, v0, vcc
	v_cndmask_b32_e32 v17, v20, v17, vcc
	v_lshlrev_b32_sdwa v20, v54, v40 dst_sel:DWORD dst_unused:UNUSED_PAD src0_sel:DWORD src1_sel:WORD_1
	v_lshlrev_b32_e32 v17, 20, v17
	v_and_b32_e32 v20, 0x80000000, v20
	v_lshl_add_u32 v0, v0, 23, v26
	v_or3_b32 v20, v20, v0, v17
.LBB0_810:                              ;   in Loop: Header=BB0_505 Depth=2
	s_or_b64 exec, exec, s[76:77]
.LBB0_811:                              ;   in Loop: Header=BB0_505 Depth=2
	s_or_b64 exec, exec, s[74:75]
.LBB0_812:                              ;   in Loop: Header=BB0_505 Depth=2
	s_or_b64 exec, exec, s[18:19]
	v_max_f32_e32 v0, v20, v20
	v_max_f32_e32 v17, v18, v18
	v_min_f32_e32 v18, v17, v0
.LBB0_813:                              ;   in Loop: Header=BB0_505 Depth=2
	s_or_b64 exec, exec, s[72:73]
	v_and_b32_e32 v27, 0x7f800000, v18
	v_mov_b32_e32 v28, v41
	v_cmp_ne_u64_e32 vcc, s[56:57], v[27:28]
                                        ; implicit-def: $vgpr27
	s_and_saveexec_b64 s[18:19], vcc
	s_xor_b64 s[72:73], exec, s[18:19]
	s_cbranch_execz .LBB0_827
; %bb.814:                              ;   in Loop: Header=BB0_505 Depth=2
	v_and_b32_e32 v27, 0x7fffffff, v18
	v_mov_b32_e32 v28, v41
	v_cmp_gt_u64_e32 vcc, s[58:59], v[27:28]
	v_and_b32_sdwa v0, v18, s38 dst_sel:DWORD dst_unused:UNUSED_PAD src0_sel:BYTE_3 src1_sel:DWORD
                                        ; implicit-def: $vgpr27
	s_and_saveexec_b64 s[18:19], vcc
	s_xor_b64 s[74:75], exec, s[18:19]
	s_cbranch_execz .LBB0_824
; %bb.815:                              ;   in Loop: Header=BB0_505 Depth=2
	v_mov_b32_e32 v27, 0
	v_cmp_ne_u32_e32 vcc, 0, v18
	s_and_saveexec_b64 s[76:77], vcc
	s_cbranch_execz .LBB0_823
; %bb.816:                              ;   in Loop: Header=BB0_505 Depth=2
	v_bfe_u32 v20, v18, 23, 8
	v_and_b32_e32 v17, 0x7fffff, v18
	v_cmp_gt_u32_e64 s[18:19], s48, v20
	v_sub_u32_e32 v18, 0x79, v20
	v_cmp_eq_u32_e32 vcc, 0, v20
	v_cndmask_b32_e64 v18, 0, v18, s[18:19]
	v_or_b32_e32 v27, 0x800000, v17
	v_cndmask_b32_e32 v31, v18, v7, vcc
	v_cndmask_b32_e32 v17, v27, v17, vcc
	v_add_u32_e32 v27, 20, v31
	v_lshlrev_b64 v[27:28], v27, -1
	v_mov_b32_e32 v18, v41
	v_add_u32_e32 v33, 19, v31
	v_bfi_b32 v27, v27, 0, v17
	v_lshlrev_b64 v[44:45], v33, 1
	v_lshrrev_b64 v[17:18], v31, v[17:18]
	v_bfi_b32 v28, v28, 0, 0
	v_cmp_eq_u64_e64 s[18:19], v[27:28], v[44:45]
	v_mov_b32_e32 v28, v18
	v_mov_b32_e32 v27, v17
	s_and_saveexec_b64 s[78:79], s[18:19]
; %bb.817:                              ;   in Loop: Header=BB0_505 Depth=2
	v_bfe_u32 v18, v17, 20, 1
	v_add_co_u32_e64 v18, s[18:19], v17, v18
	v_add_co_u32_e64 v27, s[18:19], -1, v18
; %bb.818:                              ;   in Loop: Header=BB0_505 Depth=2
	s_or_b64 exec, exec, s[78:79]
	v_add_u32_e32 v18, 0xffffff81, v20
	v_cndmask_b32_e32 v18, v18, v8, vcc
	v_lshrrev_b32_e32 v20, 23, v17
	v_add3_u32 v31, v31, v18, v20
	v_add_u32_e32 v28, 6, v31
	v_and_b32_e32 v18, 0xfffff, v27
	v_add_u32_e32 v17, v18, v17
	v_mov_b32_e32 v18, v41
	v_cmp_ne_u32_e32 vcc, 0, v28
                                        ; implicit-def: $vgpr20
	s_and_saveexec_b64 s[18:19], vcc
	s_xor_b64 s[18:19], exec, s[18:19]
; %bb.819:                              ;   in Loop: Header=BB0_505 Depth=2
	v_cmp_lt_u64_e32 vcc, s[60:61], v[17:18]
	v_add_u32_e32 v20, 7, v31
	v_cndmask_b32_e64 v27, 0, 1, vcc
	v_cndmask_b32_e32 v20, v28, v20, vcc
	v_lshrrev_b64 v[17:18], v27, v[17:18]
; %bb.820:                              ;   in Loop: Header=BB0_505 Depth=2
	s_andn2_saveexec_b64 s[18:19], s[18:19]
; %bb.821:                              ;   in Loop: Header=BB0_505 Depth=2
	v_bfe_u32 v20, v17, 23, 1
; %bb.822:                              ;   in Loop: Header=BB0_505 Depth=2
	s_or_b64 exec, exec, s[18:19]
	v_lshrrev_b64 v[17:18], 20, v[17:18]
	v_cmp_gt_i32_e32 vcc, 16, v20
	v_cndmask_b32_e32 v18, 0, v18, vcc
	v_cndmask_b32_e32 v17, 7, v17, vcc
	v_cmp_eq_u64_e64 s[18:19], 0, v[17:18]
	v_min_i32_e32 v18, 15, v20
	v_lshlrev_b32_e32 v18, 3, v18
	v_cmp_eq_u32_e32 vcc, 0, v20
	v_and_b32_e32 v18, 0xf8, v18
	v_and_or_b32 v17, v17, 7, v18
	s_and_b64 s[18:19], vcc, s[18:19]
	v_cndmask_b32_e64 v17, v17, 0, s[18:19]
	v_or_b32_e32 v27, v17, v0
.LBB0_823:                              ;   in Loop: Header=BB0_505 Depth=2
	s_or_b64 exec, exec, s[76:77]
                                        ; implicit-def: $vgpr0
.LBB0_824:                              ;   in Loop: Header=BB0_505 Depth=2
	s_andn2_saveexec_b64 s[18:19], s[74:75]
; %bb.825:                              ;   in Loop: Header=BB0_505 Depth=2
	v_or_b32_e32 v27, 0x7e, v0
; %bb.826:                              ;   in Loop: Header=BB0_505 Depth=2
	s_or_b64 exec, exec, s[18:19]
                                        ; implicit-def: $vgpr18
.LBB0_827:                              ;   in Loop: Header=BB0_505 Depth=2
	s_andn2_saveexec_b64 s[18:19], s[72:73]
; %bb.828:                              ;   in Loop: Header=BB0_505 Depth=2
	v_or_b32_sdwa v27, v18, s39 dst_sel:DWORD dst_unused:UNUSED_PAD src0_sel:BYTE_3 src1_sel:DWORD
; %bb.829:                              ;   in Loop: Header=BB0_505 Depth=2
	s_or_b64 exec, exec, s[18:19]
	v_and_b32_e32 v44, 0xff000000, v19
	v_mov_b32_e32 v45, v41
	v_cmp_ne_u64_e32 vcc, 0, v[44:45]
	v_lshrrev_b32_e32 v17, 24, v19
	v_lshrrev_b32_e32 v0, 24, v40
                                        ; implicit-def: $vgpr18
	s_and_saveexec_b64 s[18:19], s[14:15]
	s_xor_b64 s[72:73], exec, s[18:19]
	s_cbranch_execz .LBB0_843
; %bb.830:                              ;   in Loop: Header=BB0_505 Depth=2
	v_mov_b32_e32 v20, 0
	v_mov_b32_e32 v18, 0
	s_and_saveexec_b64 s[74:75], vcc
	s_cbranch_execz .LBB0_836
; %bb.831:                              ;   in Loop: Header=BB0_505 Depth=2
	v_cmp_ne_u32_e64 s[18:19], s38, v17
	v_bfrev_b32_e32 v18, 1
	s_and_saveexec_b64 s[76:77], s[18:19]
	s_cbranch_execz .LBB0_835
; %bb.832:                              ;   in Loop: Header=BB0_505 Depth=2
	v_bfe_u32 v19, v19, 24, 7
	v_cmp_ne_u32_e64 s[18:19], s39, v19
	v_mov_b32_e32 v18, 0x7f800001
	s_and_saveexec_b64 s[78:79], s[18:19]
	s_cbranch_execz .LBB0_834
; %bb.833:                              ;   in Loop: Header=BB0_505 Depth=2
	v_and_b32_e32 v28, 7, v17
	v_ffbh_u32_e32 v18, v28
	v_min_u32_e32 v33, 32, v18
	v_subrev_u32_e32 v18, 28, v33
	v_lshrrev_b32_e32 v31, 3, v19
	v_cmp_gt_u32_e64 s[18:19], 8, v19
	v_lshlrev_b64 v[18:19], v18, v[17:18]
	v_sub_u32_e32 v19, 29, v33
	v_and_b32_e32 v18, 7, v18
	v_cndmask_b32_e64 v19, v31, v19, s[18:19]
	v_cndmask_b32_e64 v18, v28, v18, s[18:19]
	v_lshlrev_b32_e32 v17, 24, v17
	v_lshlrev_b32_e32 v18, 20, v18
	v_and_b32_e32 v17, 0x80000000, v17
	v_lshl_add_u32 v19, v19, 23, v26
	v_or3_b32 v18, v17, v19, v18
.LBB0_834:                              ;   in Loop: Header=BB0_505 Depth=2
	s_or_b64 exec, exec, s[78:79]
.LBB0_835:                              ;   in Loop: Header=BB0_505 Depth=2
	s_or_b64 exec, exec, s[76:77]
.LBB0_836:                              ;   in Loop: Header=BB0_505 Depth=2
	s_or_b64 exec, exec, s[74:75]
	v_cmp_lt_u32_e64 s[18:19], s49, v40
	s_and_saveexec_b64 s[74:75], s[18:19]
	s_cbranch_execz .LBB0_842
; %bb.837:                              ;   in Loop: Header=BB0_505 Depth=2
	v_cmp_ne_u32_sdwa s[18:19], v40, s38 src0_sel:BYTE_3 src1_sel:DWORD
	v_bfrev_b32_e32 v20, 1
	s_and_saveexec_b64 s[76:77], s[18:19]
	s_cbranch_execz .LBB0_841
; %bb.838:                              ;   in Loop: Header=BB0_505 Depth=2
	v_bfe_u32 v17, v40, 24, 7
	v_cmp_ne_u32_e64 s[18:19], s39, v17
	v_mov_b32_e32 v20, 0x7f800001
	s_and_saveexec_b64 s[78:79], s[18:19]
	s_cbranch_execz .LBB0_840
; %bb.839:                              ;   in Loop: Header=BB0_505 Depth=2
	v_and_b32_e32 v28, 7, v0
	v_lshrrev_b32_e32 v31, 3, v17
	v_cmp_gt_u32_e64 s[18:19], 8, v17
	v_ffbh_u32_e32 v17, v28
	v_min_u32_e32 v17, 32, v17
	v_subrev_u32_e32 v19, 28, v17
	v_lshlrev_b64 v[19:20], v19, v[0:1]
	v_sub_u32_e32 v0, 29, v17
	v_and_b32_e32 v17, 7, v19
	v_cndmask_b32_e64 v0, v31, v0, s[18:19]
	v_cndmask_b32_e64 v17, v28, v17, s[18:19]
	v_lshlrev_b32_sdwa v19, v54, v40 dst_sel:DWORD dst_unused:UNUSED_PAD src0_sel:DWORD src1_sel:BYTE_3
	v_lshlrev_b32_e32 v17, 20, v17
	v_and_b32_e32 v19, 0x80000000, v19
	v_lshl_add_u32 v0, v0, 23, v26
	v_or3_b32 v20, v19, v0, v17
.LBB0_840:                              ;   in Loop: Header=BB0_505 Depth=2
	s_or_b64 exec, exec, s[78:79]
.LBB0_841:                              ;   in Loop: Header=BB0_505 Depth=2
	s_or_b64 exec, exec, s[76:77]
.LBB0_842:                              ;   in Loop: Header=BB0_505 Depth=2
	s_or_b64 exec, exec, s[74:75]
	v_max_f32_e32 v0, v20, v20
	v_max_f32_e32 v17, v18, v18
	;; [unrolled: 1-line block ×3, first 2 shown]
                                        ; implicit-def: $vgpr17
                                        ; implicit-def: $vgpr0
                                        ; implicit-def: $vgpr19_vgpr20
.LBB0_843:                              ;   in Loop: Header=BB0_505 Depth=2
	s_andn2_saveexec_b64 s[18:19], s[72:73]
	s_cbranch_execz .LBB0_857
; %bb.844:                              ;   in Loop: Header=BB0_505 Depth=2
	v_mov_b32_e32 v20, 0
	v_mov_b32_e32 v18, 0
	s_and_saveexec_b64 s[72:73], vcc
	s_cbranch_execz .LBB0_850
; %bb.845:                              ;   in Loop: Header=BB0_505 Depth=2
	v_cmp_ne_u32_e32 vcc, s38, v17
	v_bfrev_b32_e32 v18, 1
	s_and_saveexec_b64 s[74:75], vcc
	s_cbranch_execz .LBB0_849
; %bb.846:                              ;   in Loop: Header=BB0_505 Depth=2
	v_bfe_u32 v19, v19, 24, 7
	v_cmp_ne_u32_e32 vcc, s39, v19
	v_mov_b32_e32 v18, 0x7f800001
	s_and_saveexec_b64 s[76:77], vcc
	s_cbranch_execz .LBB0_848
; %bb.847:                              ;   in Loop: Header=BB0_505 Depth=2
	v_and_b32_e32 v28, 7, v17
	v_ffbh_u32_e32 v18, v28
	v_min_u32_e32 v33, 32, v18
	v_subrev_u32_e32 v18, 28, v33
	v_lshrrev_b32_e32 v31, 3, v19
	v_cmp_gt_u32_e32 vcc, 8, v19
	v_lshlrev_b64 v[18:19], v18, v[17:18]
	v_sub_u32_e32 v19, 29, v33
	v_and_b32_e32 v18, 7, v18
	v_cndmask_b32_e32 v19, v31, v19, vcc
	v_cndmask_b32_e32 v18, v28, v18, vcc
	v_lshlrev_b32_e32 v17, 24, v17
	v_lshlrev_b32_e32 v18, 20, v18
	v_and_b32_e32 v17, 0x80000000, v17
	v_lshl_add_u32 v19, v19, 23, v26
	v_or3_b32 v18, v17, v19, v18
.LBB0_848:                              ;   in Loop: Header=BB0_505 Depth=2
	s_or_b64 exec, exec, s[76:77]
.LBB0_849:                              ;   in Loop: Header=BB0_505 Depth=2
	s_or_b64 exec, exec, s[74:75]
.LBB0_850:                              ;   in Loop: Header=BB0_505 Depth=2
	s_or_b64 exec, exec, s[72:73]
	v_cmp_lt_u32_e32 vcc, s49, v40
	s_and_saveexec_b64 s[72:73], vcc
	s_cbranch_execz .LBB0_856
; %bb.851:                              ;   in Loop: Header=BB0_505 Depth=2
	v_cmp_ne_u32_sdwa s[76:77], v40, s38 src0_sel:BYTE_3 src1_sel:DWORD
	v_bfrev_b32_e32 v20, 1
	s_and_saveexec_b64 s[74:75], s[76:77]
	s_cbranch_execz .LBB0_855
; %bb.852:                              ;   in Loop: Header=BB0_505 Depth=2
	v_bfe_u32 v17, v40, 24, 7
	v_cmp_ne_u32_e32 vcc, s39, v17
	v_mov_b32_e32 v20, 0x7f800001
	s_and_saveexec_b64 s[76:77], vcc
	s_cbranch_execz .LBB0_854
; %bb.853:                              ;   in Loop: Header=BB0_505 Depth=2
	v_and_b32_e32 v28, 7, v0
	v_lshrrev_b32_e32 v31, 3, v17
	v_cmp_gt_u32_e32 vcc, 8, v17
	v_ffbh_u32_e32 v17, v28
	v_min_u32_e32 v17, 32, v17
	v_subrev_u32_e32 v19, 28, v17
	v_lshlrev_b64 v[19:20], v19, v[0:1]
	v_sub_u32_e32 v0, 29, v17
	v_and_b32_e32 v17, 7, v19
	v_cndmask_b32_e32 v0, v31, v0, vcc
	v_cndmask_b32_e32 v17, v28, v17, vcc
	v_lshlrev_b32_sdwa v19, v54, v40 dst_sel:DWORD dst_unused:UNUSED_PAD src0_sel:DWORD src1_sel:BYTE_3
	v_lshlrev_b32_e32 v17, 20, v17
	v_and_b32_e32 v19, 0x80000000, v19
	v_lshl_add_u32 v0, v0, 23, v26
	v_or3_b32 v20, v19, v0, v17
.LBB0_854:                              ;   in Loop: Header=BB0_505 Depth=2
	s_or_b64 exec, exec, s[76:77]
.LBB0_855:                              ;   in Loop: Header=BB0_505 Depth=2
	s_or_b64 exec, exec, s[74:75]
.LBB0_856:                              ;   in Loop: Header=BB0_505 Depth=2
	s_or_b64 exec, exec, s[72:73]
	v_max_f32_e32 v0, v20, v20
	v_max_f32_e32 v17, v18, v18
	v_min_f32_e32 v18, v17, v0
.LBB0_857:                              ;   in Loop: Header=BB0_505 Depth=2
	s_or_b64 exec, exec, s[18:19]
	v_and_b32_e32 v40, 0x7f800000, v18
	v_cmp_ne_u64_e32 vcc, s[56:57], v[40:41]
                                        ; implicit-def: $vgpr19
	s_and_saveexec_b64 s[18:19], vcc
	s_xor_b64 s[72:73], exec, s[18:19]
	s_cbranch_execz .LBB0_871
; %bb.858:                              ;   in Loop: Header=BB0_505 Depth=2
	v_and_b32_e32 v40, 0x7fffffff, v18
	v_cmp_gt_u64_e32 vcc, s[58:59], v[40:41]
	v_and_b32_sdwa v0, v18, s38 dst_sel:DWORD dst_unused:UNUSED_PAD src0_sel:BYTE_3 src1_sel:DWORD
                                        ; implicit-def: $vgpr19
	s_and_saveexec_b64 s[18:19], vcc
	s_xor_b64 s[74:75], exec, s[18:19]
	s_cbranch_execz .LBB0_868
; %bb.859:                              ;   in Loop: Header=BB0_505 Depth=2
	v_mov_b32_e32 v19, 0
	v_cmp_ne_u32_e32 vcc, 0, v18
	s_and_saveexec_b64 s[76:77], vcc
	s_cbranch_execz .LBB0_867
; %bb.860:                              ;   in Loop: Header=BB0_505 Depth=2
	v_bfe_u32 v20, v18, 23, 8
	v_and_b32_e32 v17, 0x7fffff, v18
	v_cmp_gt_u32_e64 s[18:19], s48, v20
	v_sub_u32_e32 v18, 0x79, v20
	v_cmp_eq_u32_e32 vcc, 0, v20
	v_cndmask_b32_e64 v18, 0, v18, s[18:19]
	v_or_b32_e32 v19, 0x800000, v17
	v_cndmask_b32_e32 v28, v18, v7, vcc
	v_cndmask_b32_e32 v40, v19, v17, vcc
	v_add_u32_e32 v17, 20, v28
	v_lshlrev_b64 v[17:18], v17, -1
	v_add_u32_e32 v19, 19, v28
	v_lshlrev_b64 v[44:45], v19, 1
	v_bfi_b32 v18, v18, 0, 0
	v_bfi_b32 v17, v17, 0, v40
	v_cmp_eq_u64_e64 s[18:19], v[17:18], v[44:45]
	v_lshrrev_b64 v[17:18], v28, v[40:41]
	v_mov_b32_e32 v19, v18
	v_mov_b32_e32 v18, v17
	s_and_saveexec_b64 s[78:79], s[18:19]
; %bb.861:                              ;   in Loop: Header=BB0_505 Depth=2
	v_bfe_u32 v18, v17, 20, 1
	v_add_co_u32_e64 v18, s[18:19], v17, v18
	v_add_co_u32_e64 v18, s[18:19], -1, v18
; %bb.862:                              ;   in Loop: Header=BB0_505 Depth=2
	s_or_b64 exec, exec, s[78:79]
	v_add_u32_e32 v19, 0xffffff81, v20
	v_cndmask_b32_e32 v19, v19, v8, vcc
	v_lshrrev_b32_e32 v20, 23, v17
	v_add3_u32 v28, v28, v19, v20
	v_add_u32_e32 v20, 6, v28
	v_and_b32_e32 v18, 0xfffff, v18
	v_add_u32_e32 v40, v18, v17
	v_cmp_ne_u32_e32 vcc, 0, v20
                                        ; implicit-def: $vgpr17_vgpr18
                                        ; implicit-def: $vgpr19
	s_and_saveexec_b64 s[18:19], vcc
	s_xor_b64 s[18:19], exec, s[18:19]
; %bb.863:                              ;   in Loop: Header=BB0_505 Depth=2
	v_cmp_lt_u64_e32 vcc, s[60:61], v[40:41]
	v_add_u32_e32 v17, 7, v28
	v_cndmask_b32_e32 v19, v20, v17, vcc
	v_cndmask_b32_e64 v17, 0, 1, vcc
	v_lshrrev_b64 v[17:18], v17, v[40:41]
; %bb.864:                              ;   in Loop: Header=BB0_505 Depth=2
	s_andn2_saveexec_b64 s[18:19], s[18:19]
; %bb.865:                              ;   in Loop: Header=BB0_505 Depth=2
	v_mov_b32_e32 v17, v40
	v_bfe_u32 v19, v40, 23, 1
	v_mov_b32_e32 v18, v41
; %bb.866:                              ;   in Loop: Header=BB0_505 Depth=2
	s_or_b64 exec, exec, s[18:19]
	v_lshrrev_b64 v[17:18], 20, v[17:18]
	v_cmp_gt_i32_e32 vcc, 16, v19
	v_cndmask_b32_e32 v18, 0, v18, vcc
	v_cndmask_b32_e32 v17, 7, v17, vcc
	v_cmp_eq_u64_e64 s[18:19], 0, v[17:18]
	v_min_i32_e32 v18, 15, v19
	v_lshlrev_b32_e32 v18, 3, v18
	v_cmp_eq_u32_e32 vcc, 0, v19
	v_and_b32_e32 v18, 0xf8, v18
	v_and_or_b32 v17, v17, 7, v18
	s_and_b64 s[18:19], vcc, s[18:19]
	v_cndmask_b32_e64 v17, v17, 0, s[18:19]
	v_or_b32_e32 v19, v17, v0
.LBB0_867:                              ;   in Loop: Header=BB0_505 Depth=2
	s_or_b64 exec, exec, s[76:77]
                                        ; implicit-def: $vgpr0
.LBB0_868:                              ;   in Loop: Header=BB0_505 Depth=2
	s_andn2_saveexec_b64 s[18:19], s[74:75]
; %bb.869:                              ;   in Loop: Header=BB0_505 Depth=2
	v_or_b32_e32 v19, 0x7e, v0
; %bb.870:                              ;   in Loop: Header=BB0_505 Depth=2
	s_or_b64 exec, exec, s[18:19]
                                        ; implicit-def: $vgpr18
.LBB0_871:                              ;   in Loop: Header=BB0_505 Depth=2
	s_andn2_saveexec_b64 s[18:19], s[72:73]
; %bb.872:                              ;   in Loop: Header=BB0_505 Depth=2
	v_or_b32_sdwa v19, v18, s39 dst_sel:DWORD dst_unused:UNUSED_PAD src0_sel:BYTE_3 src1_sel:DWORD
; %bb.873:                              ;   in Loop: Header=BB0_505 Depth=2
	s_or_b64 exec, exec, s[18:19]
	v_lshlrev_b32_e32 v0, 16, v11
	v_lshlrev_b32_e32 v11, 24, v29
	v_lshl_or_b32 v0, v10, 8, v0
	v_lshlrev_b32_e32 v10, 16, v27
	v_or3_b32 v17, v0, v11, v9
	v_lshlrev_b32_e32 v0, 24, v19
	v_lshl_or_b32 v10, v30, 8, v10
	v_cmp_lt_u32_e32 vcc, 7, v32
	v_or3_b32 v18, v10, v0, v25
	s_cmp_lg_u64 vcc, exec
	s_mov_b64 s[18:19], -1
	s_cbranch_scc0 .LBB0_883
; %bb.874:                              ;   in Loop: Header=BB0_505 Depth=2
	v_cmp_ne_u32_e64 s[18:19], 1, v32
	flat_store_byte v[46:47], v9
	s_and_saveexec_b64 s[72:73], s[18:19]
	s_cbranch_execz .LBB0_885
; %bb.875:                              ;   in Loop: Header=BB0_505 Depth=2
	v_lshrrev_b32_e32 v0, 8, v17
	flat_store_byte v[46:47], v0 offset:1
	s_or_b64 exec, exec, s[72:73]
	v_cmp_lt_u32_e64 s[18:19], 2, v32
	s_and_saveexec_b64 s[72:73], s[18:19]
	s_cbranch_execnz .LBB0_886
.LBB0_876:                              ;   in Loop: Header=BB0_505 Depth=2
	s_or_b64 exec, exec, s[72:73]
	v_cmp_lt_u32_e64 s[18:19], 3, v32
	s_and_saveexec_b64 s[72:73], s[18:19]
	s_cbranch_execz .LBB0_887
.LBB0_877:                              ;   in Loop: Header=BB0_505 Depth=2
	v_lshrrev_b32_e32 v0, 24, v17
	flat_store_byte v[46:47], v0 offset:3
	s_or_b64 exec, exec, s[72:73]
	v_cmp_lt_u32_e64 s[18:19], 4, v32
	s_and_saveexec_b64 s[72:73], s[18:19]
	s_cbranch_execnz .LBB0_888
.LBB0_878:                              ;   in Loop: Header=BB0_505 Depth=2
	s_or_b64 exec, exec, s[72:73]
	v_cmp_lt_u32_e64 s[18:19], 5, v32
	s_and_saveexec_b64 s[72:73], s[18:19]
	s_cbranch_execz .LBB0_889
.LBB0_879:                              ;   in Loop: Header=BB0_505 Depth=2
	v_lshrrev_b32_e32 v0, 8, v18
	flat_store_byte v[46:47], v0 offset:5
	s_or_b64 exec, exec, s[72:73]
	v_cmp_lt_u32_e64 s[18:19], 6, v32
	s_and_saveexec_b64 s[72:73], s[18:19]
	s_cbranch_execnz .LBB0_890
.LBB0_880:                              ;   in Loop: Header=BB0_505 Depth=2
	s_or_b64 exec, exec, s[72:73]
	s_and_saveexec_b64 s[18:19], vcc
	s_cbranch_execz .LBB0_882
.LBB0_881:                              ;   in Loop: Header=BB0_505 Depth=2
	v_lshrrev_b32_e32 v0, 24, v18
	flat_store_byte v[46:47], v0 offset:7
.LBB0_882:                              ;   in Loop: Header=BB0_505 Depth=2
	s_or_b64 exec, exec, s[18:19]
	s_mov_b64 s[18:19], 0
.LBB0_883:                              ;   in Loop: Header=BB0_505 Depth=2
	s_and_b64 vcc, exec, s[18:19]
	s_cbranch_vccz .LBB0_504
; %bb.884:                              ;   in Loop: Header=BB0_505 Depth=2
	global_store_dwordx2 v[46:47], v[17:18], off
	s_branch .LBB0_504
.LBB0_885:                              ;   in Loop: Header=BB0_505 Depth=2
	s_or_b64 exec, exec, s[72:73]
	v_cmp_lt_u32_e64 s[18:19], 2, v32
	s_and_saveexec_b64 s[72:73], s[18:19]
	s_cbranch_execz .LBB0_876
.LBB0_886:                              ;   in Loop: Header=BB0_505 Depth=2
	flat_store_byte_d16_hi v[46:47], v17 offset:2
	s_or_b64 exec, exec, s[72:73]
	v_cmp_lt_u32_e64 s[18:19], 3, v32
	s_and_saveexec_b64 s[72:73], s[18:19]
	s_cbranch_execnz .LBB0_877
.LBB0_887:                              ;   in Loop: Header=BB0_505 Depth=2
	s_or_b64 exec, exec, s[72:73]
	v_cmp_lt_u32_e64 s[18:19], 4, v32
	s_and_saveexec_b64 s[72:73], s[18:19]
	s_cbranch_execz .LBB0_878
.LBB0_888:                              ;   in Loop: Header=BB0_505 Depth=2
	flat_store_byte v[46:47], v25 offset:4
	s_or_b64 exec, exec, s[72:73]
	v_cmp_lt_u32_e64 s[18:19], 5, v32
	s_and_saveexec_b64 s[72:73], s[18:19]
	s_cbranch_execnz .LBB0_879
.LBB0_889:                              ;   in Loop: Header=BB0_505 Depth=2
	s_or_b64 exec, exec, s[72:73]
	v_cmp_lt_u32_e64 s[18:19], 6, v32
	s_and_saveexec_b64 s[72:73], s[18:19]
	s_cbranch_execz .LBB0_880
.LBB0_890:                              ;   in Loop: Header=BB0_505 Depth=2
	flat_store_byte_d16_hi v[46:47], v18 offset:6
	s_or_b64 exec, exec, s[72:73]
	s_and_saveexec_b64 s[18:19], vcc
	s_cbranch_execnz .LBB0_881
	s_branch .LBB0_882
.LBB0_891:                              ;   in Loop: Header=BB0_21 Depth=1
	s_or_b64 exec, exec, s[62:63]
	buffer_load_dword v48, off, s[0:3], s32 offset:152 ; 4-byte Folded Reload
	buffer_load_dword v49, off, s[0:3], s32 offset:156 ; 4-byte Folded Reload
.LBB0_892:                              ;   in Loop: Header=BB0_21 Depth=1
	s_or_b64 exec, exec, s[20:21]
	buffer_load_dword v17, off, s[0:3], s32 offset:136 ; 4-byte Folded Reload
	buffer_load_dword v18, off, s[0:3], s32 offset:140 ; 4-byte Folded Reload
	;; [unrolled: 1-line block ×6, first 2 shown]
	s_waitcnt vmcnt(0)
	v_mov_b32_e32 v28, v20
	v_mov_b32_e32 v27, v19
	s_and_saveexec_b64 s[18:19], s[10:11]
	s_cbranch_execz .LBB0_911
; %bb.893:                              ;   in Loop: Header=BB0_21 Depth=1
	s_and_saveexec_b64 s[20:21], s[42:43]
	s_xor_b64 s[20:21], exec, s[20:21]
	s_cbranch_execz .LBB0_908
; %bb.894:                              ;   in Loop: Header=BB0_21 Depth=1
	s_and_saveexec_b64 s[62:63], s[12:13]
	s_cbranch_execz .LBB0_907
; %bb.895:                              ;   in Loop: Header=BB0_21 Depth=1
	s_mov_b64 s[74:75], exec
	s_waitcnt lgkmcnt(0)
	v_mbcnt_lo_u32_b32 v0, s74, 0
	v_mbcnt_hi_u32_b32 v0, s75, v0
	v_cmp_eq_u32_e32 vcc, 0, v0
	buffer_wbinvl1_vol
	s_and_saveexec_b64 s[72:73], vcc
	s_cbranch_execz .LBB0_897
; %bb.896:                              ;   in Loop: Header=BB0_21 Depth=1
	s_bcnt1_i32_b64 s28, s[74:75]
	v_mov_b32_e32 v40, s28
	ds_add_u64 v0, v[40:41]
	s_trap 2
.LBB0_897:                              ;   in Loop: Header=BB0_21 Depth=1
	s_or_b64 exec, exec, s[72:73]
	s_trap 2
	ds_read_b64 v[9:10], v0
	s_waitcnt lgkmcnt(0)
	buffer_load_dword v0, off, s[0:3], s32 offset:96 ; 4-byte Folded Reload
	s_waitcnt vmcnt(0)
	v_add_co_u32_e32 v2, vcc, v2, v0
	v_addc_co_u32_e32 v3, vcc, 0, v3, vcc
	v_cmp_lt_u64_e32 vcc, v[9:10], v[2:3]
	s_and_saveexec_b64 s[72:73], vcc
	s_cbranch_execz .LBB0_906
; %bb.898:                              ;   in Loop: Header=BB0_21 Depth=1
	s_mov_b32 s28, 0
	s_mov_b64 s[74:75], 0
                                        ; implicit-def: $sgpr76_sgpr77
                                        ; implicit-def: $sgpr78_sgpr79
	s_branch .LBB0_900
.LBB0_899:                              ;   in Loop: Header=BB0_900 Depth=2
	s_or_b64 exec, exec, s[90:91]
	s_and_b64 s[88:89], exec, s[92:93]
	s_or_b64 s[74:75], s[88:89], s[74:75]
	s_andn2_b64 s[76:77], s[76:77], exec
	s_and_b64 s[88:89], s[78:79], exec
	s_or_b64 s[76:77], s[76:77], s[88:89]
	s_andn2_b64 exec, exec, s[74:75]
	s_cbranch_execz .LBB0_904
.LBB0_900:                              ;   Parent Loop BB0_21 Depth=1
                                        ; =>  This Inner Loop Header: Depth=2
	s_add_i32 s28, s28, 1
	s_cmpk_lg_i32 s28, 0x2710
	s_cselect_b64 s[88:89], -1, 0
	s_and_b64 vcc, exec, s[88:89]
	s_cbranch_vccz .LBB0_902
; %bb.901:                              ;   in Loop: Header=BB0_900 Depth=2
	s_mov_b64 s[92:93], -1
	s_or_b64 s[78:79], s[78:79], exec
	s_and_saveexec_b64 s[90:91], s[88:89]
	s_cbranch_execz .LBB0_899
	s_branch .LBB0_903
.LBB0_902:                              ;   in Loop: Header=BB0_900 Depth=2
	s_trap 2
	ds_read_b64 v[9:10], v0
	s_andn2_b64 s[88:89], s[88:89], exec
	s_mov_b32 s28, 0
	s_waitcnt lgkmcnt(0)
	flat_load_dword v0, v[9:10] glc
	s_waitcnt vmcnt(0) lgkmcnt(0)
	buffer_wbinvl1_vol
	v_cmp_eq_u32_e32 vcc, 0, v0
	s_and_b64 s[90:91], vcc, exec
	s_or_b64 s[88:89], s[88:89], s[90:91]
	s_mov_b64 s[92:93], -1
	s_or_b64 s[78:79], s[78:79], exec
	s_and_saveexec_b64 s[90:91], s[88:89]
	s_cbranch_execz .LBB0_899
.LBB0_903:                              ;   in Loop: Header=BB0_900 Depth=2
	s_sleep 1
	s_trap 2
	ds_read_b64 v[9:10], v0
	s_waitcnt lgkmcnt(0)
	s_andn2_b64 s[78:79], s[78:79], exec
	v_cmp_ge_u64_e32 vcc, v[9:10], v[2:3]
	s_orn2_b64 s[92:93], vcc, exec
	s_branch .LBB0_899
.LBB0_904:                              ;   in Loop: Header=BB0_21 Depth=1
	s_or_b64 exec, exec, s[74:75]
	s_and_saveexec_b64 s[74:75], s[76:77]
	s_xor_b64 s[74:75], exec, s[74:75]
	s_cbranch_execz .LBB0_906
; %bb.905:                              ;   in Loop: Header=BB0_21 Depth=1
	v_mov_b32_e32 v0, 1
	ds_write_b32 v0, v0
	s_trap 2
.LBB0_906:                              ;   in Loop: Header=BB0_21 Depth=1
	s_or_b64 exec, exec, s[72:73]
	;;#ASMSTART
	s_wakeup
	;;#ASMEND
.LBB0_907:                              ;   in Loop: Header=BB0_21 Depth=1
	s_or_b64 exec, exec, s[62:63]
.LBB0_908:                              ;   in Loop: Header=BB0_21 Depth=1
	s_andn2_saveexec_b64 s[20:21], s[20:21]
	s_cbranch_execz .LBB0_910
; %bb.909:                              ;   in Loop: Header=BB0_21 Depth=1
	s_waitcnt lgkmcnt(0)
	buffer_wbinvl1_vol
	s_barrier
.LBB0_910:                              ;   in Loop: Header=BB0_21 Depth=1
	s_or_b64 exec, exec, s[20:21]
.LBB0_911:                              ;   in Loop: Header=BB0_21 Depth=1
	s_or_b64 exec, exec, s[18:19]
	s_and_saveexec_b64 s[18:19], s[16:17]
	s_cbranch_execz .LBB0_20
; %bb.912:                              ;   in Loop: Header=BB0_21 Depth=1
	buffer_load_dword v9, off, s[0:3], s32 offset:68 ; 4-byte Folded Reload
	buffer_load_dword v10, off, s[0:3], s32 offset:72 ; 4-byte Folded Reload
	v_add_co_u32_e32 v38, vcc, 1, v38
	v_addc_co_u32_e32 v39, vcc, 0, v39, vcc
	s_waitcnt vmcnt(0)
	flat_store_dwordx2 v[9:10], v[38:39]
	s_branch .LBB0_20
.LBB0_913:
	s_or_b64 exec, exec, s[40:41]
	buffer_load_dword v31, off, s[0:3], s32 offset:208 ; 4-byte Folded Reload
	buffer_load_dword v11, off, s[0:3], s32 offset:212 ; 4-byte Folded Reload
	;; [unrolled: 1-line block ×6, first 2 shown]
.LBB0_914:
	s_or_b64 exec, exec, s[26:27]
	s_and_saveexec_b64 s[6:7], s[24:25]
	s_cbranch_execz .LBB0_917
; %bb.915:
	s_waitcnt vmcnt(0) lgkmcnt(0)
	flat_store_dwordx2 v[32:33], v[38:39] offset:104
	s_or_b64 exec, exec, s[6:7]
	s_and_saveexec_b64 s[6:7], s[4:5]
	s_cbranch_execnz .LBB0_918
.LBB0_916:
	s_or_b64 exec, exec, s[6:7]
	v_cmp_ne_u32_e32 vcc, 64, v1
	s_and_saveexec_b64 s[4:5], vcc
	s_cbranch_execnz .LBB0_919
	s_branch .LBB0_936
.LBB0_917:
	s_or_b64 exec, exec, s[6:7]
	s_and_saveexec_b64 s[6:7], s[4:5]
	s_cbranch_execz .LBB0_916
.LBB0_918:
	s_waitcnt vmcnt(0) lgkmcnt(0)
	flat_store_dwordx2 v[9:10], v[15:16] offset:104
	s_or_b64 exec, exec, s[6:7]
	v_cmp_ne_u32_e32 vcc, 64, v1
	s_and_saveexec_b64 s[4:5], vcc
	s_cbranch_execz .LBB0_936
.LBB0_919:
	s_waitcnt vmcnt(0)
	v_cmp_ne_u32_sdwa s[6:7], v1, v11 src0_sel:DWORD src1_sel:WORD_0
	s_and_saveexec_b64 s[8:9], s[6:7]
	s_xor_b64 s[6:7], exec, s[8:9]
	s_cbranch_execz .LBB0_934
; %bb.920:
	s_waitcnt lgkmcnt(0)
	v_and_b32_e32 v0, 63, v31
	v_cmp_eq_u32_e32 vcc, 0, v0
	s_and_saveexec_b64 s[8:9], vcc
	s_cbranch_execz .LBB0_933
; %bb.921:
	s_mov_b64 s[12:13], exec
	v_mbcnt_lo_u32_b32 v0, s12, 0
	v_mbcnt_hi_u32_b32 v0, s13, v0
	v_cmp_eq_u32_e32 vcc, 0, v0
	buffer_wbinvl1_vol
	s_and_saveexec_b64 s[10:11], vcc
	s_cbranch_execz .LBB0_923
; %bb.922:
	s_bcnt1_i32_b64 s12, s[12:13]
	v_mov_b32_e32 v4, s12
	v_mov_b32_e32 v5, 0
	ds_add_u64 v0, v[4:5]
	s_trap 2
.LBB0_923:
	s_or_b64 exec, exec, s[10:11]
	v_lshrrev_b32_e32 v0, 6, v1
	s_trap 2
	ds_read_b64 v[4:5], v0
	s_waitcnt lgkmcnt(0)
	v_add_co_u32_e32 v0, vcc, v2, v0
	v_addc_co_u32_e32 v1, vcc, 0, v3, vcc
	v_cmp_lt_u64_e32 vcc, v[4:5], v[0:1]
	s_and_saveexec_b64 s[10:11], vcc
	s_cbranch_execz .LBB0_932
; %bb.924:
	s_mov_b32 s24, 0
	s_mov_b64 s[12:13], 0
                                        ; implicit-def: $sgpr14_sgpr15
                                        ; implicit-def: $sgpr16_sgpr17
	s_branch .LBB0_926
.LBB0_925:                              ;   in Loop: Header=BB0_926 Depth=1
	s_or_b64 exec, exec, s[20:21]
	s_and_b64 s[18:19], exec, s[22:23]
	s_or_b64 s[12:13], s[18:19], s[12:13]
	s_andn2_b64 s[14:15], s[14:15], exec
	s_and_b64 s[18:19], s[16:17], exec
	s_or_b64 s[14:15], s[14:15], s[18:19]
	s_andn2_b64 exec, exec, s[12:13]
	s_cbranch_execz .LBB0_930
.LBB0_926:                              ; =>This Inner Loop Header: Depth=1
	s_add_i32 s24, s24, 1
	s_cmpk_lg_i32 s24, 0x2710
	s_cselect_b64 s[18:19], -1, 0
	s_and_b64 vcc, exec, s[18:19]
	s_cbranch_vccz .LBB0_928
; %bb.927:                              ;   in Loop: Header=BB0_926 Depth=1
	s_mov_b64 s[22:23], -1
	s_or_b64 s[16:17], s[16:17], exec
	s_and_saveexec_b64 s[20:21], s[18:19]
	s_cbranch_execz .LBB0_925
	s_branch .LBB0_929
.LBB0_928:                              ;   in Loop: Header=BB0_926 Depth=1
	s_trap 2
	ds_read_b64 v[2:3], v0
	s_andn2_b64 s[18:19], s[18:19], exec
	s_mov_b32 s24, 0
	s_waitcnt lgkmcnt(0)
	flat_load_dword v2, v[2:3] glc
	s_waitcnt vmcnt(0) lgkmcnt(0)
	buffer_wbinvl1_vol
	v_cmp_eq_u32_e32 vcc, 0, v2
	s_and_b64 s[20:21], vcc, exec
	s_or_b64 s[18:19], s[18:19], s[20:21]
	s_mov_b64 s[22:23], -1
	s_or_b64 s[16:17], s[16:17], exec
	s_and_saveexec_b64 s[20:21], s[18:19]
	s_cbranch_execz .LBB0_925
.LBB0_929:                              ;   in Loop: Header=BB0_926 Depth=1
	s_sleep 1
	s_trap 2
	ds_read_b64 v[2:3], v0
	s_waitcnt lgkmcnt(0)
	s_andn2_b64 s[16:17], s[16:17], exec
	v_cmp_ge_u64_e32 vcc, v[2:3], v[0:1]
	s_orn2_b64 s[22:23], vcc, exec
	s_branch .LBB0_925
.LBB0_930:
	s_or_b64 exec, exec, s[12:13]
	s_and_saveexec_b64 s[12:13], s[14:15]
	s_xor_b64 s[12:13], exec, s[12:13]
	s_cbranch_execz .LBB0_932
; %bb.931:
	v_mov_b32_e32 v0, 1
	ds_write_b32 v0, v0
	s_trap 2
.LBB0_932:
	s_or_b64 exec, exec, s[10:11]
	;;#ASMSTART
	s_wakeup
	;;#ASMEND
.LBB0_933:
	s_or_b64 exec, exec, s[8:9]
.LBB0_934:
	s_andn2_saveexec_b64 s[6:7], s[6:7]
	s_cbranch_execz .LBB0_936
; %bb.935:
	s_waitcnt lgkmcnt(0)
	buffer_wbinvl1_vol
	s_barrier
.LBB0_936:
	s_or_b64 exec, exec, s[4:5]
	buffer_load_dword v62, off, s[0:3], s32 ; 4-byte Folded Reload
	buffer_load_dword v61, off, s[0:3], s32 offset:4 ; 4-byte Folded Reload
	buffer_load_dword v60, off, s[0:3], s32 offset:8 ; 4-byte Folded Reload
	;; [unrolled: 1-line block ×14, first 2 shown]
	v_readlane_b32 s30, v63, 9
	v_readlane_b32 s31, v63, 10
	;; [unrolled: 1-line block ×11, first 2 shown]
	s_or_saveexec_b64 s[4:5], -1
	buffer_load_dword v63, off, s[0:3], s32 offset:232 ; 4-byte Folded Reload
	s_mov_b64 exec, s[4:5]
	s_waitcnt vmcnt(0) lgkmcnt(0)
	s_setpc_b64 s[30:31]
.Lfunc_end0:
	.size	_ZN12_GLOBAL__N_17runRingI14__hip_fp8_e4m310FuncMinMaxIS1_E7ProtoLLLi0ELi1ELi0EEEviiP15ncclDevWorkColl, .Lfunc_end0-_ZN12_GLOBAL__N_17runRingI14__hip_fp8_e4m310FuncMinMaxIS1_E7ProtoLLLi0ELi1ELi0EEEviiP15ncclDevWorkColl
                                        ; -- End function
	.set .L_ZN12_GLOBAL__N_17runRingI14__hip_fp8_e4m310FuncMinMaxIS1_E7ProtoLLLi0ELi1ELi0EEEviiP15ncclDevWorkColl.num_vgpr, 64
	.set .L_ZN12_GLOBAL__N_17runRingI14__hip_fp8_e4m310FuncMinMaxIS1_E7ProtoLLLi0ELi1ELi0EEEviiP15ncclDevWorkColl.num_agpr, 0
	.set .L_ZN12_GLOBAL__N_17runRingI14__hip_fp8_e4m310FuncMinMaxIS1_E7ProtoLLLi0ELi1ELi0EEEviiP15ncclDevWorkColl.numbered_sgpr, 96
	.set .L_ZN12_GLOBAL__N_17runRingI14__hip_fp8_e4m310FuncMinMaxIS1_E7ProtoLLLi0ELi1ELi0EEEviiP15ncclDevWorkColl.num_named_barrier, 0
	.set .L_ZN12_GLOBAL__N_17runRingI14__hip_fp8_e4m310FuncMinMaxIS1_E7ProtoLLLi0ELi1ELi0EEEviiP15ncclDevWorkColl.private_seg_size, 240
	.set .L_ZN12_GLOBAL__N_17runRingI14__hip_fp8_e4m310FuncMinMaxIS1_E7ProtoLLLi0ELi1ELi0EEEviiP15ncclDevWorkColl.uses_vcc, 1
	.set .L_ZN12_GLOBAL__N_17runRingI14__hip_fp8_e4m310FuncMinMaxIS1_E7ProtoLLLi0ELi1ELi0EEEviiP15ncclDevWorkColl.uses_flat_scratch, 0
	.set .L_ZN12_GLOBAL__N_17runRingI14__hip_fp8_e4m310FuncMinMaxIS1_E7ProtoLLLi0ELi1ELi0EEEviiP15ncclDevWorkColl.has_dyn_sized_stack, 0
	.set .L_ZN12_GLOBAL__N_17runRingI14__hip_fp8_e4m310FuncMinMaxIS1_E7ProtoLLLi0ELi1ELi0EEEviiP15ncclDevWorkColl.has_recursion, 0
	.set .L_ZN12_GLOBAL__N_17runRingI14__hip_fp8_e4m310FuncMinMaxIS1_E7ProtoLLLi0ELi1ELi0EEEviiP15ncclDevWorkColl.has_indirect_call, 0
	.section	.AMDGPU.csdata,"",@progbits
; Function info:
; codeLenInByte = 26840
; TotalNumSgprs: 100
; NumVgprs: 64
; ScratchSize: 240
; MemoryBound: 0
	.text
	.p2align	2                               ; -- Begin function _Z53ncclDevFunc_ReduceScatter_RING_LL_MinMax_f8e4m3_0_0_1v
	.type	_Z53ncclDevFunc_ReduceScatter_RING_LL_MinMax_f8e4m3_0_0_1v,@function
_Z53ncclDevFunc_ReduceScatter_RING_LL_MinMax_f8e4m3_0_0_1v: ; @_Z53ncclDevFunc_ReduceScatter_RING_LL_MinMax_f8e4m3_0_0_1v
; %bb.0:
	s_waitcnt vmcnt(0) expcnt(0) lgkmcnt(0)
	s_mov_b32 s4, s33
	s_mov_b32 s33, s32
	s_or_saveexec_b64 s[6:7], -1
	buffer_store_dword v43, off, s[0:3], s33 offset:16 ; 4-byte Folded Spill
	s_mov_b64 exec, s[6:7]
	v_writelane_b32 v43, s4, 17
	s_addk_i32 s32, 0x800
	buffer_store_dword v40, off, s[0:3], s33 offset:12 ; 4-byte Folded Spill
	buffer_store_dword v41, off, s[0:3], s33 offset:8 ; 4-byte Folded Spill
	;; [unrolled: 1-line block ×3, first 2 shown]
	buffer_store_dword v63, off, s[0:3], s33 ; 4-byte Folded Spill
	v_writelane_b32 v43, s34, 0
	v_writelane_b32 v43, s35, 1
	;; [unrolled: 1-line block ×17, first 2 shown]
	s_trap 2
	ds_read_b32 v0, v0
	v_mov_b32_e32 v40, v31
	v_and_b32_e32 v41, 0x3ff, v40
	s_mov_b32 s51, s12
	s_mov_b64 s[52:53], s[8:9]
	s_waitcnt lgkmcnt(0)
	v_cmp_lt_i32_e32 vcc, v41, v0
	s_and_saveexec_b64 s[4:5], vcc
	s_cbranch_execz .LBB1_5
; %bb.1:
	s_load_dword s6, s[52:53], 0x0
	v_mov_b32_e32 v1, 0
	s_mov_b32 s10, 0
	v_mov_b32_e32 v4, v41
                                        ; implicit-def: $vgpr3
	s_waitcnt lgkmcnt(0)
	s_cmp_lt_u32 s51, s6
	s_cselect_b32 s6, 12, 18
	s_add_u32 s6, s52, s6
	s_addc_u32 s7, s53, 0
	global_load_ushort v1, v1, s[6:7]
	s_trap 2
	ds_read_b32 v2, v0
	s_mov_b64 s[6:7], 0
	s_waitcnt vmcnt(0) lgkmcnt(0)
	v_mul_lo_u32 v2, v2, v1
	s_branch .LBB1_3
.LBB1_2:                                ;   in Loop: Header=BB1_3 Depth=1
	s_or_b64 exec, exec, s[8:9]
	v_add_u32_e32 v4, v4, v1
	v_cmp_ge_i32_e32 vcc, v4, v0
	s_or_b64 s[6:7], vcc, s[6:7]
	v_add_u32_e32 v3, v3, v2
	s_andn2_b64 exec, exec, s[6:7]
	s_cbranch_execz .LBB1_5
.LBB1_3:                                ; =>This Inner Loop Header: Depth=1
	ds_read_b32 v5, v3
	s_waitcnt lgkmcnt(0)
	v_and_b32_e32 v5, 0x1000000, v5
	v_cmp_ne_u32_e32 vcc, 0, v5
	s_and_saveexec_b64 s[8:9], vcc
	s_cbranch_execz .LBB1_2
; %bb.4:                                ;   in Loop: Header=BB1_3 Depth=1
	ds_read_b64 v[5:6], v3 offset:104
	s_waitcnt lgkmcnt(0)
	flat_load_ubyte v5, v[5:6]
	v_mov_b32_e32 v6, s10
	s_waitcnt vmcnt(0) lgkmcnt(0)
	v_and_b32_e32 v5, 0xffff, v5
	ds_write_b64 v3, v[5:6] offset:104
	s_branch .LBB1_2
.LBB1_5:
	s_or_b64 exec, exec, s[4:5]
	s_waitcnt vmcnt(0) lgkmcnt(0)
	s_barrier
	s_trap 2
	ds_read_b32 v0, v0
	s_waitcnt lgkmcnt(0)
	v_cmp_gt_i32_e32 vcc, 1, v0
	s_cbranch_vccnz .LBB1_13
; %bb.6:
	s_mov_b32 s64, 0
	v_mov_b32_e32 v42, 6
	s_branch .LBB1_8
.LBB1_7:                                ;   in Loop: Header=BB1_8 Depth=1
	s_or_b64 exec, exec, s[54:55]
	s_trap 2
	ds_read_b32 v0, v0
	s_add_i32 s64, s64, 1
	s_waitcnt lgkmcnt(0)
	v_cmp_lt_i32_e32 vcc, s64, v0
	s_cbranch_vccz .LBB1_13
.LBB1_8:                                ; =>This Inner Loop Header: Depth=1
	s_trap 2
	ds_read_b32 v0, v0
	s_cmp_eq_u32 s64, 0
	s_cbranch_scc1 .LBB1_11
; %bb.9:                                ;   in Loop: Header=BB1_8 Depth=1
	s_trap 2
	s_waitcnt lgkmcnt(0)
	ds_read_b32 v1, v0
	s_waitcnt lgkmcnt(0)
	v_xor_b32_e32 v1, v1, v0
	v_and_b32_e32 v1, 0xff0000, v1
	v_cmp_eq_u32_e32 vcc, 0, v1
	s_cbranch_vccnz .LBB1_11
; %bb.10:                               ;   in Loop: Header=BB1_8 Depth=1
	s_barrier
	ds_read_b32 v0, v0
.LBB1_11:                               ;   in Loop: Header=BB1_8 Depth=1
	s_waitcnt lgkmcnt(0)
	v_lshlrev_b32_sdwa v1, v42, v0 dst_sel:DWORD dst_unused:UNUSED_PAD src0_sel:DWORD src1_sel:BYTE_2
	v_cmp_lt_u32_e32 vcc, v41, v1
	s_and_saveexec_b64 s[54:55], vcc
	s_cbranch_execz .LBB1_7
; %bb.12:                               ;   in Loop: Header=BB1_8 Depth=1
	s_mov_b64 s[4:5], src_shared_base
	s_getpc_b64 s[6:7]
	s_add_u32 s6, s6, _ZN12_GLOBAL__N_17runRingI14__hip_fp8_e4m310FuncMinMaxIS1_E7ProtoLLLi0ELi1ELi0EEEviiP15ncclDevWorkColl@rel32@lo+4
	s_addc_u32 s7, s7, _ZN12_GLOBAL__N_17runRingI14__hip_fp8_e4m310FuncMinMaxIS1_E7ProtoLLLi0ELi1ELi0EEEviiP15ncclDevWorkColl@rel32@hi+12
	s_mov_b64 s[8:9], s[52:53]
	s_mov_b32 s12, s51
	v_mov_b32_e32 v31, v40
	v_mov_b32_e32 v0, v41
	;; [unrolled: 1-line block ×3, first 2 shown]
	s_swappc_b64 s[30:31], s[6:7]
	s_branch .LBB1_7
.LBB1_13:
	buffer_load_dword v63, off, s[0:3], s33 ; 4-byte Folded Reload
	buffer_load_dword v42, off, s[0:3], s33 offset:4 ; 4-byte Folded Reload
	buffer_load_dword v41, off, s[0:3], s33 offset:8 ; 4-byte Folded Reload
	;; [unrolled: 1-line block ×3, first 2 shown]
	v_readlane_b32 s30, v43, 15
	v_readlane_b32 s31, v43, 16
	;; [unrolled: 1-line block ×17, first 2 shown]
	s_mov_b32 s32, s33
	v_readlane_b32 s4, v43, 17
	s_or_saveexec_b64 s[6:7], -1
	buffer_load_dword v43, off, s[0:3], s33 offset:16 ; 4-byte Folded Reload
	s_mov_b64 exec, s[6:7]
	s_mov_b32 s33, s4
	s_waitcnt vmcnt(0)
	s_setpc_b64 s[30:31]
.Lfunc_end1:
	.size	_Z53ncclDevFunc_ReduceScatter_RING_LL_MinMax_f8e4m3_0_0_1v, .Lfunc_end1-_Z53ncclDevFunc_ReduceScatter_RING_LL_MinMax_f8e4m3_0_0_1v
                                        ; -- End function
	.set .L_Z53ncclDevFunc_ReduceScatter_RING_LL_MinMax_f8e4m3_0_0_1v.num_vgpr, max(64, .L_ZN12_GLOBAL__N_17runRingI14__hip_fp8_e4m310FuncMinMaxIS1_E7ProtoLLLi0ELi1ELi0EEEviiP15ncclDevWorkColl.num_vgpr)
	.set .L_Z53ncclDevFunc_ReduceScatter_RING_LL_MinMax_f8e4m3_0_0_1v.num_agpr, max(0, .L_ZN12_GLOBAL__N_17runRingI14__hip_fp8_e4m310FuncMinMaxIS1_E7ProtoLLLi0ELi1ELi0EEEviiP15ncclDevWorkColl.num_agpr)
	.set .L_Z53ncclDevFunc_ReduceScatter_RING_LL_MinMax_f8e4m3_0_0_1v.numbered_sgpr, max(65, .L_ZN12_GLOBAL__N_17runRingI14__hip_fp8_e4m310FuncMinMaxIS1_E7ProtoLLLi0ELi1ELi0EEEviiP15ncclDevWorkColl.numbered_sgpr)
	.set .L_Z53ncclDevFunc_ReduceScatter_RING_LL_MinMax_f8e4m3_0_0_1v.num_named_barrier, max(0, .L_ZN12_GLOBAL__N_17runRingI14__hip_fp8_e4m310FuncMinMaxIS1_E7ProtoLLLi0ELi1ELi0EEEviiP15ncclDevWorkColl.num_named_barrier)
	.set .L_Z53ncclDevFunc_ReduceScatter_RING_LL_MinMax_f8e4m3_0_0_1v.private_seg_size, 32+max(.L_ZN12_GLOBAL__N_17runRingI14__hip_fp8_e4m310FuncMinMaxIS1_E7ProtoLLLi0ELi1ELi0EEEviiP15ncclDevWorkColl.private_seg_size)
	.set .L_Z53ncclDevFunc_ReduceScatter_RING_LL_MinMax_f8e4m3_0_0_1v.uses_vcc, or(1, .L_ZN12_GLOBAL__N_17runRingI14__hip_fp8_e4m310FuncMinMaxIS1_E7ProtoLLLi0ELi1ELi0EEEviiP15ncclDevWorkColl.uses_vcc)
	.set .L_Z53ncclDevFunc_ReduceScatter_RING_LL_MinMax_f8e4m3_0_0_1v.uses_flat_scratch, or(0, .L_ZN12_GLOBAL__N_17runRingI14__hip_fp8_e4m310FuncMinMaxIS1_E7ProtoLLLi0ELi1ELi0EEEviiP15ncclDevWorkColl.uses_flat_scratch)
	.set .L_Z53ncclDevFunc_ReduceScatter_RING_LL_MinMax_f8e4m3_0_0_1v.has_dyn_sized_stack, or(0, .L_ZN12_GLOBAL__N_17runRingI14__hip_fp8_e4m310FuncMinMaxIS1_E7ProtoLLLi0ELi1ELi0EEEviiP15ncclDevWorkColl.has_dyn_sized_stack)
	.set .L_Z53ncclDevFunc_ReduceScatter_RING_LL_MinMax_f8e4m3_0_0_1v.has_recursion, or(1, .L_ZN12_GLOBAL__N_17runRingI14__hip_fp8_e4m310FuncMinMaxIS1_E7ProtoLLLi0ELi1ELi0EEEviiP15ncclDevWorkColl.has_recursion)
	.set .L_Z53ncclDevFunc_ReduceScatter_RING_LL_MinMax_f8e4m3_0_0_1v.has_indirect_call, or(0, .L_ZN12_GLOBAL__N_17runRingI14__hip_fp8_e4m310FuncMinMaxIS1_E7ProtoLLLi0ELi1ELi0EEEviiP15ncclDevWorkColl.has_indirect_call)
	.section	.AMDGPU.csdata,"",@progbits
; Function info:
; codeLenInByte = 880
; TotalNumSgprs: 100
; NumVgprs: 64
; ScratchSize: 272
; MemoryBound: 0
	.text
	.p2align	2                               ; -- Begin function _ZN12_GLOBAL__N_17runRingI14__hip_fp8_e4m310FuncMinMaxIS1_E7ProtoLLLi0ELi2ELi0EEEviiP15ncclDevWorkColl
	.type	_ZN12_GLOBAL__N_17runRingI14__hip_fp8_e4m310FuncMinMaxIS1_E7ProtoLLLi0ELi2ELi0EEEviiP15ncclDevWorkColl,@function
_ZN12_GLOBAL__N_17runRingI14__hip_fp8_e4m310FuncMinMaxIS1_E7ProtoLLLi0ELi2ELi0EEEviiP15ncclDevWorkColl: ; @_ZN12_GLOBAL__N_17runRingI14__hip_fp8_e4m310FuncMinMaxIS1_E7ProtoLLLi0ELi2ELi0EEEviiP15ncclDevWorkColl
; %bb.0:
	s_waitcnt vmcnt(0) expcnt(0) lgkmcnt(0)
	s_or_saveexec_b64 s[4:5], -1
	buffer_store_dword v63, off, s[0:3], s32 offset:232 ; 4-byte Folded Spill
	s_mov_b64 exec, s[4:5]
	buffer_store_dword v40, off, s[0:3], s32 offset:56 ; 4-byte Folded Spill
	buffer_store_dword v41, off, s[0:3], s32 offset:52 ; 4-byte Folded Spill
	;; [unrolled: 1-line block ×14, first 2 shown]
	buffer_store_dword v62, off, s[0:3], s32 ; 4-byte Folded Spill
	v_writelane_b32 v63, s34, 0
	v_writelane_b32 v63, s35, 1
	;; [unrolled: 1-line block ×11, first 2 shown]
	s_trap 2
	flat_load_dword v7, v[2:3]
	flat_load_dwordx4 v[25:28], v[2:3] offset:72
	flat_load_dwordx2 v[17:18], v[2:3] offset:88
	v_mov_b32_e32 v4, v0
	ds_read_b32 v5, v0
	s_waitcnt lgkmcnt(0)
	v_readfirstlane_b32 s22, v5
	s_waitcnt vmcnt(0)
	v_not_b32_sdwa v6, v7 dst_sel:DWORD dst_unused:UNUSED_PAD src0_sel:BYTE_0
	v_add_u32_sdwa v0, v7, v6 dst_sel:DWORD dst_unused:UNUSED_PAD src0_sel:BYTE_1 src1_sel:DWORD
	v_ashrrev_i32_e32 v8, 31, v0
	v_mul_lo_u32 v9, v28, v0
	v_mad_u64_u32 v[19:20], s[4:5], v27, v0, 0
	v_mul_lo_u32 v0, v27, v8
	v_cmp_ne_u32_sdwa s[4:5], v5, v7 src0_sel:DWORD src1_sel:BYTE_0
	ds_read_b64 v[23:24], v0
	v_add3_u32 v0, v20, v0, v9
                                        ; implicit-def: $vgpr20_vgpr21
                                        ; implicit-def: $vgpr8_vgpr9
                                        ; kill: killed $vgpr8_vgpr9
	s_and_saveexec_b64 s[6:7], s[4:5]
	s_xor_b64 s[4:5], exec, s[6:7]
	s_cbranch_execz .LBB2_6
; %bb.1:
	v_cmp_ne_u32_sdwa s[6:7], v5, v7 src0_sel:DWORD src1_sel:BYTE_1
                                        ; implicit-def: $vgpr20_vgpr21
                                        ; implicit-def: $vgpr7_vgpr8
                                        ; kill: killed $vgpr7_vgpr8
	s_and_saveexec_b64 s[10:11], s[6:7]
	s_xor_b64 s[6:7], exec, s[10:11]
	s_cbranch_execz .LBB2_3
; %bb.2:
	flat_load_dwordx2 v[7:8], v[2:3] offset:96
	v_add_u32_e32 v5, v5, v6
	v_ashrrev_i32_e32 v6, 31, v5
	v_mul_lo_u32 v6, v27, v6
	v_mul_lo_u32 v9, v28, v5
	v_mad_u64_u32 v[10:11], s[10:11], v27, v5, v[25:26]
	v_add3_u32 v11, v9, v11, v6
	buffer_store_dword v10, off, s[0:3], s32 offset:128 ; 4-byte Folded Spill
	s_nop 0
	buffer_store_dword v11, off, s[0:3], s32 offset:132 ; 4-byte Folded Spill
	s_waitcnt vmcnt(0) lgkmcnt(0)
	v_lshrrev_b64 v[20:21], 17, v[7:8]
.LBB2_3:
	s_andn2_saveexec_b64 s[6:7], s[6:7]
	s_cbranch_execz .LBB2_5
; %bb.4:
	flat_load_dword v5, v[2:3] offset:100
	v_add_co_u32_e32 v6, vcc, v19, v25
	v_mov_b32_e32 v28, v18
	v_addc_co_u32_e32 v7, vcc, v0, v26, vcc
	v_mov_b32_e32 v27, v17
	buffer_store_dword v6, off, s[0:3], s32 offset:128 ; 4-byte Folded Spill
	s_nop 0
	buffer_store_dword v7, off, s[0:3], s32 offset:132 ; 4-byte Folded Spill
	s_waitcnt vmcnt(0) lgkmcnt(0)
	v_lshrrev_b32_e32 v20, 6, v5
.LBB2_5:
	s_or_b64 exec, exec, s[6:7]
.LBB2_6:
	s_andn2_saveexec_b64 s[4:5], s[4:5]
	s_cbranch_execz .LBB2_8
; %bb.7:
	flat_load_dwordx2 v[5:6], v[2:3] offset:96
	v_mov_b32_e32 v28, v26
	v_mov_b32_e32 v27, v25
	s_waitcnt vmcnt(0) lgkmcnt(0)
	v_lshlrev_b64 v[20:21], 4, v[5:6]
	v_mov_b32_e32 v5, 0
	v_mov_b32_e32 v6, 0
	buffer_store_dword v5, off, s[0:3], s32 offset:128 ; 4-byte Folded Spill
	s_nop 0
	buffer_store_dword v6, off, s[0:3], s32 offset:132 ; 4-byte Folded Spill
.LBB2_8:
	s_or_b64 exec, exec, s[4:5]
	flat_load_dwordx2 v[29:30], v[2:3] offset:104
	flat_load_ushort v6, v[2:3] offset:8
	flat_load_dword v5, v[2:3] offset:4
	flat_load_dwordx4 v[7:10], v[2:3] offset:16
	s_load_dword s4, s[8:9], 0x0
	v_mov_b32_e32 v3, 0
	s_mov_b32 s6, 0
	s_waitcnt vmcnt(0) lgkmcnt(0)
	buffer_store_dword v7, off, s[0:3], s32 offset:168 ; 4-byte Folded Spill
	s_nop 0
	buffer_store_dword v8, off, s[0:3], s32 offset:172 ; 4-byte Folded Spill
	buffer_store_dword v9, off, s[0:3], s32 offset:176 ; 4-byte Folded Spill
	;; [unrolled: 1-line block ×3, first 2 shown]
	s_cmp_lt_u32 s12, s4
	s_cselect_b32 s4, 12, 18
	s_add_u32 s4, s8, s4
	s_addc_u32 s5, s9, 0
	global_load_ushort v11, v3, s[4:5]
	s_trap 2
	ds_read_b32 v2, v0
	v_lshrrev_b64 v[5:6], 31, v[5:6]
	v_mov_b32_e32 v9, 0
	v_and_b32_e32 v6, 3, v5
	v_and_b32_e32 v5, 63, v4
	s_waitcnt lgkmcnt(0)
	v_cmp_gt_i32_e32 vcc, 0, v2
	v_readfirstlane_b32 s8, v2
	v_mov_b32_e32 v10, 0
	v_cmp_eq_u32_e64 s[4:5], 0, v5
	s_cbranch_vccnz .LBB2_10
; %bb.9:
	s_trap 2
	ds_read_b64 v[7:8], v0
	v_lshlrev_b64 v[2:3], 3, v[2:3]
	s_movk_i32 s6, 0xa8
	s_waitcnt lgkmcnt(0)
	v_add_co_u32_e32 v2, vcc, v7, v2
	v_addc_co_u32_e32 v3, vcc, v8, v3, vcc
	flat_load_dwordx2 v[2:3], v[2:3]
	v_and_b32_e32 v7, 0xffff, v6
	s_waitcnt vmcnt(0) lgkmcnt(0)
	v_mad_u64_u32 v[2:3], s[6:7], v7, s6, v[2:3]
	s_mov_b32 s6, 1
	flat_load_dwordx2 v[7:8], v[2:3] offset:504
	v_add_co_u32_e32 v32, vcc, 0x1f8, v2
	v_addc_co_u32_e32 v33, vcc, 0, v3, vcc
	s_waitcnt vmcnt(0) lgkmcnt(0)
	buffer_store_dword v7, off, s[0:3], s32 offset:76 ; 4-byte Folded Spill
	s_nop 0
	buffer_store_dword v8, off, s[0:3], s32 offset:80 ; 4-byte Folded Spill
	flat_load_dwordx2 v[34:35], v[2:3] offset:608
	v_cndmask_b32_e64 v3, 0, v33, s[4:5]
	v_cndmask_b32_e64 v2, 0, v32, s[4:5]
	s_branch .LBB2_11
.LBB2_10:
	v_mov_b32_e32 v32, 0
	v_mov_b32_e32 v2, 0
	;; [unrolled: 1-line block ×4, first 2 shown]
                                        ; implicit-def: $vgpr34_vgpr35
                                        ; implicit-def: $vgpr7_vgpr8
                                        ; kill: killed $vgpr7_vgpr8
.LBB2_11:
	s_trap 2
	ds_read_b32 v13, v0
	s_waitcnt lgkmcnt(0)
	v_cmp_gt_i32_e32 vcc, 0, v13
	s_cbranch_vccnz .LBB2_13
; %bb.12:
	s_trap 2
	ds_read_b64 v[7:8], v0
	v_mov_b32_e32 v14, 0
	v_lshlrev_b64 v[9:10], 3, v[13:14]
	v_and_b32_e32 v6, 0xffff, v6
	s_movk_i32 s4, 0xa8
	s_waitcnt lgkmcnt(0)
	v_add_co_u32_e32 v7, vcc, v7, v9
	v_addc_co_u32_e32 v8, vcc, v8, v10, vcc
	flat_load_dwordx2 v[7:8], v[7:8]
	v_cmp_eq_u32_e32 vcc, 0, v5
	s_waitcnt vmcnt(0) lgkmcnt(0)
	v_mad_u64_u32 v[9:10], s[4:5], v6, s4, v[7:8]
	flat_load_dwordx2 v[36:37], v[9:10]
	flat_load_dwordx2 v[21:22], v[9:10] offset:104
	v_cndmask_b32_e32 v16, 0, v10, vcc
	v_cndmask_b32_e32 v15, 0, v9, vcc
	s_branch .LBB2_14
.LBB2_13:
	v_mov_b32_e32 v15, 0
	v_mov_b32_e32 v16, 0
                                        ; implicit-def: $vgpr21_vgpr22
                                        ; implicit-def: $vgpr36_vgpr37
.LBB2_14:
	v_subrev_u32_e32 v6, 64, v1
	v_cmp_ge_i32_e32 vcc, v4, v6
	v_cmp_gt_u32_e64 s[4:5], s6, v5
	v_mov_b32_e32 v13, 0
	v_mov_b32_e32 v5, 0
	;; [unrolled: 1-line block ×4, first 2 shown]
	s_and_b64 s[24:25], vcc, s[4:5]
	buffer_store_dword v5, off, s[0:3], s32 offset:68 ; 4-byte Folded Spill
	s_nop 0
	buffer_store_dword v6, off, s[0:3], s32 offset:72 ; 4-byte Folded Spill
                                        ; implicit-def: $vgpr38_vgpr39
	s_and_saveexec_b64 s[4:5], s[24:25]
	s_cbranch_execz .LBB2_16
; %bb.15:
	flat_load_dwordx2 v[5:6], v[2:3] offset:56
	s_waitcnt vmcnt(0) lgkmcnt(0)
	buffer_store_dword v5, off, s[0:3], s32 offset:68 ; 4-byte Folded Spill
	s_nop 0
	buffer_store_dword v6, off, s[0:3], s32 offset:72 ; 4-byte Folded Spill
	flat_load_dwordx2 v[38:39], v[2:3] offset:104
.LBB2_16:
	s_or_b64 exec, exec, s[4:5]
	v_mov_b32_e32 v50, 0
	v_mov_b32_e32 v51, 0
	v_cmp_gt_u32_e64 s[4:5], s6, v4
                                        ; implicit-def: $vgpr52_vgpr53
	s_and_saveexec_b64 s[6:7], s[4:5]
	s_cbranch_execz .LBB2_18
; %bb.17:
	flat_load_dwordx2 v[50:51], v[15:16] offset:56
	s_waitcnt vmcnt(0) lgkmcnt(0)
	flat_load_dwordx2 v[52:53], v[50:51] glc
	s_waitcnt vmcnt(0)
	flat_load_dwordx4 v[13:16], v[15:16] offset:96
.LBB2_18:
	s_or_b64 exec, exec, s[6:7]
	v_mov_b32_e32 v2, 0
	v_cmp_ne_u64_e32 vcc, 0, v[27:28]
	v_mov_b32_e32 v3, 0
	s_and_saveexec_b64 s[26:27], vcc
	s_cbranch_execz .LBB2_914
; %bb.19:
	v_add_co_u32_e32 v2, vcc, v17, v25
	s_ashr_i32 s6, s8, 31
	v_addc_co_u32_e32 v3, vcc, v18, v26, vcc
	s_lshr_b32 s6, s6, 29
	v_add_co_u32_e32 v2, vcc, v2, v19
	s_ashr_i32 s23, s22, 31
	s_add_i32 s8, s8, s6
	v_addc_co_u32_e32 v0, vcc, v3, v0, vcc
	s_lshl_b64 s[6:7], s[22:23], 2
	buffer_store_dword v32, off, s[0:3], s32 offset:224 ; 4-byte Folded Spill
	s_nop 0
	buffer_store_dword v33, off, s[0:3], s32 offset:228 ; 4-byte Folded Spill
	buffer_store_dword v9, off, s[0:3], s32 offset:216 ; 4-byte Folded Spill
	s_nop 0
	buffer_store_dword v10, off, s[0:3], s32 offset:220 ; 4-byte Folded Spill
	buffer_store_dword v2, off, s[0:3], s32 offset:64 ; 4-byte Folded Spill
	;; [unrolled: 1-line block ×3, first 2 shown]
	v_mov_b32_e32 v0, s7
	v_add_co_u32_e32 v2, vcc, s6, v23
	v_addc_co_u32_e32 v0, vcc, v24, v0, vcc
	v_add_co_u32_e32 v2, vcc, -4, v2
	v_addc_co_u32_e32 v3, vcc, -1, v0, vcc
	v_and_b32_e32 v0, 63, v31
	v_cmp_eq_u32_e64 s[12:13], 0, v0
	v_lshrrev_b32_e32 v0, 6, v1
	buffer_store_dword v2, off, s[0:3], s32 offset:160 ; 4-byte Folded Spill
	s_nop 0
	buffer_store_dword v3, off, s[0:3], s32 offset:164 ; 4-byte Folded Spill
	s_waitcnt vmcnt(0)
	buffer_store_dword v11, off, s[0:3], s32 offset:212 ; 4-byte Folded Spill
	buffer_store_dword v31, off, s[0:3], s32 offset:208 ; 4-byte Folded Spill
	;; [unrolled: 1-line block ×3, first 2 shown]
	buffer_load_dword v5, off, s[0:3], s32 offset:168 ; 4-byte Folded Reload
	buffer_load_dword v6, off, s[0:3], s32 offset:172 ; 4-byte Folded Reload
	;; [unrolled: 1-line block ×4, first 2 shown]
	v_lshlrev_b32_e32 v9, 3, v4
	v_mov_b32_e32 v41, 0
	s_ashr_i32 s10, s8, 3
	s_ashr_i32 s36, s8, 7
	s_and_b32 s23, s10, -16
	v_cmp_ne_u64_e64 s[6:7], 0, v[50:51]
	s_waitcnt lgkmcnt(0)
	v_cmp_ne_u64_e64 s[8:9], 0, v[13:14]
	s_cmp_gt_i32 s22, 2
	v_mov_b32_e32 v42, 0
	v_and_b32_e32 v48, 0x1fffff0, v20
	s_mov_b32 s29, 0
	v_mov_b32_e32 v49, v41
	s_mov_b64 s[40:41], 0
	v_cmp_ne_u32_e64 s[10:11], 64, v1
	v_cmp_ne_u32_sdwa s[42:43], v1, v11 src0_sel:DWORD src1_sel:WORD_0
	v_lshlrev_b32_e32 v12, 3, v1
	s_cselect_b64 s[44:45], -1, 0
	v_lshlrev_b32_e32 v62, 6, v1
	v_mov_b32_e32 v43, 0
	s_mov_b64 s[46:47], 0x7ffffff8
	s_movk_i32 s37, 0xff
	s_movk_i32 s38, 0x80
	;; [unrolled: 1-line block ×3, first 2 shown]
	s_mov_b64 s[56:57], 0x7f800000
	s_mov_b64 s[58:59], 0x43e00001
	s_movk_i32 s48, 0x7a
	s_mov_b64 s[60:61], 0xffffff
	s_mov_b32 s49, 0xffffff
	v_bfrev_b32_e32 v26, 60
	v_mov_b32_e32 v54, 24
	v_mov_b32_e32 v55, 0
	s_waitcnt vmcnt(1)
	v_add_co_u32_e32 v0, vcc, v7, v9
	buffer_store_dword v0, off, s[0:3], s32 offset:184 ; 4-byte Folded Spill
	s_waitcnt vmcnt(1)
	v_addc_co_u32_e32 v0, vcc, 0, v8, vcc
	buffer_store_dword v0, off, s[0:3], s32 offset:188 ; 4-byte Folded Spill
	buffer_load_dword v2, off, s[0:3], s32 offset:68 ; 4-byte Folded Reload
	buffer_load_dword v3, off, s[0:3], s32 offset:72 ; 4-byte Folded Reload
	v_and_b32_e32 v0, 1, v29
	v_cmp_eq_u32_e64 s[14:15], 1, v0
	v_add_co_u32_e32 v0, vcc, v5, v9
	buffer_store_dword v0, off, s[0:3], s32 offset:192 ; 4-byte Folded Spill
	v_addc_co_u32_e32 v0, vcc, 0, v6, vcc
	buffer_store_dword v0, off, s[0:3], s32 offset:196 ; 4-byte Folded Spill
	s_waitcnt vmcnt(2)
	v_cmp_ne_u64_e64 s[16:17], 0, v[2:3]
	buffer_load_dword v2, off, s[0:3], s32 offset:128 ; 4-byte Folded Reload
	buffer_load_dword v3, off, s[0:3], s32 offset:132 ; 4-byte Folded Reload
	s_waitcnt vmcnt(1)
	v_add_co_u32_e32 v0, vcc, v2, v7
	s_waitcnt vmcnt(0)
	v_addc_co_u32_e32 v2, vcc, v3, v8, vcc
	v_add_co_u32_e32 v5, vcc, v0, v9
	v_addc_co_u32_e32 v6, vcc, 0, v2, vcc
	buffer_store_dword v9, off, s[0:3], s32 offset:124 ; 4-byte Folded Spill
	buffer_store_dword v5, off, s[0:3], s32 offset:100 ; 4-byte Folded Spill
	s_nop 0
	buffer_store_dword v6, off, s[0:3], s32 offset:104 ; 4-byte Folded Spill
	v_mov_b32_e32 v5, v41
	v_lshlrev_b64 v[2:3], 4, v[4:5]
	v_mov_b32_e32 v9, v27
	v_add_co_u32_e32 v0, vcc, v36, v2
	v_mov_b32_e32 v2, v41
	buffer_store_dword v0, off, s[0:3], s32 offset:200 ; 4-byte Folded Spill
	v_addc_co_u32_e32 v0, vcc, v37, v3, vcc
	v_lshlrev_b64 v[5:6], 4, v[1:2]
	v_mov_b32_e32 v2, 0
	v_mov_b32_e32 v3, 0
	;; [unrolled: 1-line block ×5, first 2 shown]
	buffer_store_dword v0, off, s[0:3], s32 offset:204 ; 4-byte Folded Spill
	buffer_store_dword v7, off, s[0:3], s32 offset:136 ; 4-byte Folded Spill
	s_nop 0
	buffer_store_dword v8, off, s[0:3], s32 offset:140 ; 4-byte Folded Spill
	buffer_store_dword v9, off, s[0:3], s32 offset:144 ; 4-byte Folded Spill
	;; [unrolled: 1-line block ×4, first 2 shown]
	s_nop 0
	buffer_store_dword v49, off, s[0:3], s32 offset:156 ; 4-byte Folded Spill
	s_branch .LBB2_21
.LBB2_20:                               ;   in Loop: Header=BB2_21 Depth=1
	s_or_b64 exec, exec, s[18:19]
	buffer_load_dword v9, off, s[0:3], s32 offset:100 ; 4-byte Folded Reload
	buffer_load_dword v10, off, s[0:3], s32 offset:104 ; 4-byte Folded Reload
	v_add_co_u32_e32 v34, vcc, 1, v34
	v_addc_co_u32_e32 v35, vcc, 0, v35, vcc
	v_add_co_u32_e32 v42, vcc, v42, v48
	v_addc_co_u32_e32 v43, vcc, 0, v43, vcc
	s_waitcnt vmcnt(0)
	v_add_co_u32_e32 v9, vcc, v9, v48
	v_addc_co_u32_e32 v10, vcc, 0, v10, vcc
	v_cmp_ge_u64_e32 vcc, v[42:43], v[27:28]
	buffer_store_dword v9, off, s[0:3], s32 offset:100 ; 4-byte Folded Spill
	s_nop 0
	buffer_store_dword v10, off, s[0:3], s32 offset:104 ; 4-byte Folded Spill
	s_or_b64 s[40:41], vcc, s[40:41]
	s_andn2_b64 exec, exec, s[40:41]
	s_cbranch_execz .LBB2_913
.LBB2_21:                               ; =>This Loop Header: Depth=1
                                        ;     Child Loop BB2_26 Depth 2
                                        ;     Child Loop BB2_45 Depth 2
	;; [unrolled: 1-line block ×5, first 2 shown]
                                        ;       Child Loop BB2_75 Depth 3
                                        ;       Child Loop BB2_94 Depth 3
	;; [unrolled: 1-line block ×3, first 2 shown]
                                        ;         Child Loop BB2_116 Depth 4
                                        ;       Child Loop BB2_484 Depth 3
                                        ;       Child Loop BB2_493 Depth 3
                                        ;     Child Loop BB2_505 Depth 2
                                        ;       Child Loop BB2_513 Depth 3
                                        ;     Child Loop BB2_900 Depth 2
	buffer_load_dword v9, off, s[0:3], s32 offset:160 ; 4-byte Folded Reload
	buffer_load_dword v10, off, s[0:3], s32 offset:164 ; 4-byte Folded Reload
	s_waitcnt vmcnt(0) lgkmcnt(0)
	flat_load_dword v0, v[9:10]
	v_sub_co_u32_e32 v9, vcc, v27, v42
	v_subb_co_u32_e32 v10, vcc, v28, v43, vcc
	v_cmp_lt_u64_e32 vcc, v[48:49], v[9:10]
	v_cndmask_b32_e32 v9, v9, v48, vcc
	v_lshl_add_u32 v10, v9, 1, 14
	v_and_b32_e32 v10, 0x7fffff0, v10
	buffer_store_dword v10, off, s[0:3], s32 offset:92 ; 4-byte Folded Spill
	s_and_saveexec_b64 s[20:21], s[6:7]
	s_cbranch_execz .LBB2_37
; %bb.22:                               ;   in Loop: Header=BB2_21 Depth=1
	v_add_co_u32_e32 v17, vcc, 1, v15
	v_addc_co_u32_e32 v18, vcc, 0, v16, vcc
	v_add_co_u32_e32 v10, vcc, 8, v52
	v_addc_co_u32_e32 v11, vcc, 0, v53, vcc
	v_cmp_lt_u64_e32 vcc, v[10:11], v[17:18]
	s_and_saveexec_b64 s[62:63], vcc
	s_cbranch_execz .LBB2_34
; %bb.23:                               ;   in Loop: Header=BB2_21 Depth=1
	s_mov_b32 s28, 0
	v_cmp_eq_u32_e32 vcc, 0, v55
	s_mov_b64 s[72:73], 0
                                        ; implicit-def: $sgpr74_sgpr75
                                        ; implicit-def: $sgpr76_sgpr77
                                        ; implicit-def: $sgpr78_sgpr79
	s_branch .LBB2_26
.LBB2_24:                               ;   in Loop: Header=BB2_26 Depth=2
	s_or_b64 exec, exec, s[30:31]
	s_andn2_b64 s[18:19], s[78:79], exec
	s_and_b64 s[78:79], s[92:93], exec
	s_or_b64 s[78:79], s[18:19], s[78:79]
	s_andn2_b64 s[18:19], s[76:77], exec
	s_and_b64 s[76:77], s[90:91], exec
	s_or_b64 s[76:77], s[18:19], s[76:77]
.LBB2_25:                               ;   in Loop: Header=BB2_26 Depth=2
	s_or_b64 exec, exec, s[88:89]
	s_and_b64 s[18:19], exec, s[76:77]
	s_or_b64 s[72:73], s[18:19], s[72:73]
	s_andn2_b64 s[18:19], s[74:75], exec
	s_and_b64 s[74:75], s[78:79], exec
	s_or_b64 s[74:75], s[18:19], s[74:75]
	s_andn2_b64 exec, exec, s[72:73]
	s_cbranch_execz .LBB2_31
.LBB2_26:                               ;   Parent Loop BB2_21 Depth=1
                                        ; =>  This Inner Loop Header: Depth=2
	s_sleep 1
	s_waitcnt vmcnt(0) lgkmcnt(0)
	flat_load_dwordx2 v[52:53], v[50:51] glc
	v_mov_b32_e32 v55, 1
	s_or_b64 s[78:79], s[78:79], exec
	s_or_b64 s[76:77], s[76:77], exec
                                        ; implicit-def: $vgpr10
	s_and_saveexec_b64 s[88:89], vcc
	s_cbranch_execz .LBB2_25
; %bb.27:                               ;   in Loop: Header=BB2_26 Depth=2
	s_add_i32 s28, s28, 1
	s_cmpk_lg_i32 s28, 0x2710
	s_cselect_b64 s[94:95], -1, 0
	s_cmpk_eq_i32 s28, 0x2710
	s_mov_b64 s[90:91], -1
	s_mov_b64 s[92:93], -1
                                        ; implicit-def: $vgpr10
	s_cbranch_scc1 .LBB2_29
; %bb.28:                               ;   in Loop: Header=BB2_26 Depth=2
	v_mov_b32_e32 v55, 1
	s_and_saveexec_b64 s[30:31], s[94:95]
	s_cbranch_execz .LBB2_24
	s_branch .LBB2_30
.LBB2_29:                               ;   in Loop: Header=BB2_26 Depth=2
	s_trap 2
	s_waitcnt vmcnt(0) lgkmcnt(0)
	ds_read_b64 v[10:11], v0
	s_andn2_b64 s[94:95], s[94:95], exec
	s_mov_b32 s28, 0
	s_mov_b64 s[92:93], 0
	s_waitcnt lgkmcnt(0)
	flat_load_dword v10, v[10:11] glc
	s_waitcnt vmcnt(0) lgkmcnt(0)
	buffer_wbinvl1_vol
	v_cmp_eq_u32_e64 s[18:19], 0, v10
	s_and_b64 s[18:19], s[18:19], exec
	s_or_b64 s[94:95], s[94:95], s[18:19]
	v_mov_b32_e32 v55, 1
	s_and_saveexec_b64 s[30:31], s[94:95]
	s_cbranch_execz .LBB2_24
.LBB2_30:                               ;   in Loop: Header=BB2_26 Depth=2
	s_waitcnt vmcnt(0) lgkmcnt(0)
	v_add_co_u32_e64 v19, s[18:19], 8, v52
	v_addc_co_u32_e64 v20, s[18:19], 0, v53, s[18:19]
	v_cmp_ge_u64_e64 s[18:19], v[19:20], v[17:18]
	v_mov_b32_e32 v55, 0
	s_or_b64 s[92:93], s[92:93], exec
	s_orn2_b64 s[90:91], s[18:19], exec
	s_branch .LBB2_24
.LBB2_31:                               ;   in Loop: Header=BB2_21 Depth=1
	s_or_b64 exec, exec, s[72:73]
	s_xor_b64 s[18:19], s[74:75], -1
	s_and_saveexec_b64 s[72:73], s[18:19]
	s_xor_b64 s[18:19], exec, s[72:73]
	s_cbranch_execz .LBB2_33
; %bb.32:                               ;   in Loop: Header=BB2_21 Depth=1
	v_mov_b32_e32 v55, 1
	s_waitcnt vmcnt(0) lgkmcnt(0)
	ds_write_b32 v0, v10
	s_trap 2
.LBB2_33:                               ;   in Loop: Header=BB2_21 Depth=1
	s_or_b64 exec, exec, s[18:19]
.LBB2_34:                               ;   in Loop: Header=BB2_21 Depth=1
	s_or_b64 exec, exec, s[62:63]
	s_and_saveexec_b64 s[18:19], s[8:9]
	s_cbranch_execz .LBB2_36
; %bb.35:                               ;   in Loop: Header=BB2_21 Depth=1
	buffer_load_dword v16, off, s[0:3], s32 offset:92 ; 4-byte Folded Reload
	v_and_b32_e32 v40, 0x7ffffff8, v15
	v_and_b32_e32 v10, 7, v15
	v_mad_u64_u32 v[10:11], s[62:63], v10, 24, v[13:14]
	v_cmp_eq_u64_e32 vcc, s[46:47], v[40:41]
	v_mov_b32_e32 v15, s23
	s_waitcnt vmcnt(0)
	v_cndmask_b32_e32 v15, v16, v15, vcc
	v_ashrrev_i32_e32 v16, 31, v15
	flat_store_dwordx2 v[10:11], v[15:16] offset:8
	s_waitcnt vmcnt(0)
.LBB2_36:                               ;   in Loop: Header=BB2_21 Depth=1
	s_or_b64 exec, exec, s[18:19]
	v_mov_b32_e32 v15, v17
	v_mov_b32_e32 v16, v18
.LBB2_37:                               ;   in Loop: Header=BB2_21 Depth=1
	s_or_b64 exec, exec, s[20:21]
	s_and_saveexec_b64 s[18:19], s[10:11]
	s_cbranch_execz .LBB2_56
; %bb.38:                               ;   in Loop: Header=BB2_21 Depth=1
	s_and_saveexec_b64 s[20:21], s[42:43]
	s_xor_b64 s[20:21], exec, s[20:21]
	s_cbranch_execz .LBB2_53
; %bb.39:                               ;   in Loop: Header=BB2_21 Depth=1
	s_and_saveexec_b64 s[62:63], s[12:13]
	s_cbranch_execz .LBB2_52
; %bb.40:                               ;   in Loop: Header=BB2_21 Depth=1
	s_mov_b64 s[74:75], exec
	v_mbcnt_lo_u32_b32 v10, s74, 0
	v_mbcnt_hi_u32_b32 v10, s75, v10
	v_cmp_eq_u32_e32 vcc, 0, v10
	s_waitcnt vmcnt(0) lgkmcnt(0)
	buffer_wbinvl1_vol
	s_and_saveexec_b64 s[72:73], vcc
	s_cbranch_execz .LBB2_42
; %bb.41:                               ;   in Loop: Header=BB2_21 Depth=1
	s_bcnt1_i32_b64 s28, s[74:75]
	v_mov_b32_e32 v40, s28
	ds_add_u64 v0, v[40:41]
	s_trap 2
.LBB2_42:                               ;   in Loop: Header=BB2_21 Depth=1
	s_or_b64 exec, exec, s[72:73]
	s_trap 2
	ds_read_b64 v[10:11], v0
	s_waitcnt lgkmcnt(0)
	buffer_load_dword v17, off, s[0:3], s32 offset:96 ; 4-byte Folded Reload
	s_waitcnt vmcnt(0)
	v_add_co_u32_e32 v2, vcc, v2, v17
	v_addc_co_u32_e32 v3, vcc, 0, v3, vcc
	v_cmp_lt_u64_e32 vcc, v[10:11], v[2:3]
	s_and_saveexec_b64 s[72:73], vcc
	s_cbranch_execz .LBB2_51
; %bb.43:                               ;   in Loop: Header=BB2_21 Depth=1
	s_mov_b32 s28, 0
	s_mov_b64 s[74:75], 0
                                        ; implicit-def: $sgpr76_sgpr77
                                        ; implicit-def: $sgpr78_sgpr79
	s_branch .LBB2_45
.LBB2_44:                               ;   in Loop: Header=BB2_45 Depth=2
	s_or_b64 exec, exec, s[90:91]
	s_and_b64 s[88:89], exec, s[92:93]
	s_or_b64 s[74:75], s[88:89], s[74:75]
	s_andn2_b64 s[76:77], s[76:77], exec
	s_and_b64 s[88:89], s[78:79], exec
	s_or_b64 s[76:77], s[76:77], s[88:89]
	s_andn2_b64 exec, exec, s[74:75]
	s_cbranch_execz .LBB2_49
.LBB2_45:                               ;   Parent Loop BB2_21 Depth=1
                                        ; =>  This Inner Loop Header: Depth=2
	s_add_i32 s28, s28, 1
	s_cmpk_lg_i32 s28, 0x2710
	s_cselect_b64 s[88:89], -1, 0
	s_and_b64 vcc, exec, s[88:89]
	s_cbranch_vccz .LBB2_47
; %bb.46:                               ;   in Loop: Header=BB2_45 Depth=2
	s_mov_b64 s[92:93], -1
	s_or_b64 s[78:79], s[78:79], exec
	s_and_saveexec_b64 s[90:91], s[88:89]
	s_cbranch_execz .LBB2_44
	s_branch .LBB2_48
.LBB2_47:                               ;   in Loop: Header=BB2_45 Depth=2
	s_trap 2
	ds_read_b64 v[10:11], v0
	s_andn2_b64 s[88:89], s[88:89], exec
	s_mov_b32 s28, 0
	s_waitcnt lgkmcnt(0)
	flat_load_dword v10, v[10:11] glc
	s_waitcnt vmcnt(0) lgkmcnt(0)
	buffer_wbinvl1_vol
	v_cmp_eq_u32_e32 vcc, 0, v10
	s_and_b64 s[90:91], vcc, exec
	s_or_b64 s[88:89], s[88:89], s[90:91]
	s_mov_b64 s[92:93], -1
	s_or_b64 s[78:79], s[78:79], exec
	s_and_saveexec_b64 s[90:91], s[88:89]
	s_cbranch_execz .LBB2_44
.LBB2_48:                               ;   in Loop: Header=BB2_45 Depth=2
	s_sleep 1
	s_trap 2
	ds_read_b64 v[10:11], v0
	s_waitcnt lgkmcnt(0)
	s_andn2_b64 s[78:79], s[78:79], exec
	v_cmp_ge_u64_e32 vcc, v[10:11], v[2:3]
	s_orn2_b64 s[92:93], vcc, exec
	s_branch .LBB2_44
.LBB2_49:                               ;   in Loop: Header=BB2_21 Depth=1
	s_or_b64 exec, exec, s[74:75]
	s_and_saveexec_b64 s[74:75], s[76:77]
	s_xor_b64 s[74:75], exec, s[74:75]
	s_cbranch_execz .LBB2_51
; %bb.50:                               ;   in Loop: Header=BB2_21 Depth=1
	v_mov_b32_e32 v10, 1
	ds_write_b32 v0, v10
	s_trap 2
.LBB2_51:                               ;   in Loop: Header=BB2_21 Depth=1
	s_or_b64 exec, exec, s[72:73]
	;;#ASMSTART
	s_wakeup
	;;#ASMEND
.LBB2_52:                               ;   in Loop: Header=BB2_21 Depth=1
	s_or_b64 exec, exec, s[62:63]
.LBB2_53:                               ;   in Loop: Header=BB2_21 Depth=1
	s_andn2_saveexec_b64 s[20:21], s[20:21]
	s_cbranch_execz .LBB2_55
; %bb.54:                               ;   in Loop: Header=BB2_21 Depth=1
	s_waitcnt vmcnt(0) lgkmcnt(0)
	buffer_wbinvl1_vol
	s_barrier
.LBB2_55:                               ;   in Loop: Header=BB2_21 Depth=1
	s_or_b64 exec, exec, s[20:21]
.LBB2_56:                               ;   in Loop: Header=BB2_21 Depth=1
	s_or_b64 exec, exec, s[18:19]
	buffer_load_dword v10, off, s[0:3], s32 offset:124 ; 4-byte Folded Reload
	v_add_u32_e32 v18, 1, v21
	v_mov_b32_e32 v29, v4
	s_waitcnt vmcnt(0)
	v_sub_u32_e32 v32, v9, v10
	v_cmp_lt_i32_e64 s[18:19], 0, v32
	v_and_b32_e32 v9, 7, v21
	s_and_saveexec_b64 s[20:21], s[18:19]
	s_cbranch_execz .LBB2_64
; %bb.57:                               ;   in Loop: Header=BB2_21 Depth=1
	buffer_load_dword v29, off, s[0:3], s32 offset:100 ; 4-byte Folded Reload
	buffer_load_dword v30, off, s[0:3], s32 offset:104 ; 4-byte Folded Reload
	;; [unrolled: 1-line block ×4, first 2 shown]
	s_waitcnt lgkmcnt(0)
	v_ashrrev_i32_e32 v11, 31, v0
	v_mul_lo_u32 v10, v9, s36
	s_waitcnt vmcnt(1)
	v_mad_u64_u32 v[27:28], s[62:63], v20, v0, v[29:30]
	s_waitcnt vmcnt(0)
	v_mul_lo_u32 v17, v17, v0
	v_mul_lo_u32 v19, v20, v11
	v_ashrrev_i32_e32 v11, 31, v10
	v_lshlrev_b64 v[10:11], 4, v[10:11]
	v_mul_lo_u32 v0, v20, v0
	v_add3_u32 v28, v17, v28, v19
	buffer_load_dword v17, off, s[0:3], s32 offset:200 ; 4-byte Folded Reload
	s_mov_b64 s[62:63], 0
	v_add_lshl_u32 v0, v29, v0, 3
	v_mov_b32_e32 v29, v4
	s_waitcnt vmcnt(0)
	v_add_co_u32_e32 v46, vcc, v17, v10
	buffer_load_dword v10, off, s[0:3], s32 offset:204 ; 4-byte Folded Reload
	s_waitcnt vmcnt(0)
	v_addc_co_u32_e32 v47, vcc, v10, v11, vcc
	v_mov_b32_e32 v10, v32
	s_branch .LBB2_59
.LBB2_58:                               ;   in Loop: Header=BB2_59 Depth=2
	s_or_b64 exec, exec, s[72:73]
	v_add_co_u32_e32 v27, vcc, v27, v12
	v_sub_u32_e32 v10, v10, v12
	v_addc_co_u32_e32 v28, vcc, 0, v28, vcc
	s_waitcnt vmcnt(0)
	v_alignbit_b32 v17, v30, v11, v0
	v_alignbit_b32 v19, v25, v30, v0
	v_mov_b32_e32 v20, v18
	v_cmp_gt_i32_e32 vcc, 1, v10
	global_store_dwordx4 v[46:47], v[17:20], off
	s_or_b64 s[62:63], vcc, s[62:63]
	v_add_co_u32_e32 v46, vcc, v46, v5
	v_add_u32_e32 v29, v29, v1
	v_add_u32_e32 v0, v0, v62
	v_addc_co_u32_e32 v47, vcc, v47, v6, vcc
	s_andn2_b64 exec, exec, s[62:63]
	s_cbranch_execz .LBB2_63
.LBB2_59:                               ;   Parent Loop BB2_21 Depth=1
                                        ; =>  This Inner Loop Header: Depth=2
	v_and_b32_e32 v19, -4, v27
	v_mov_b32_e32 v20, v28
	global_load_dword v11, v[19:20], off glc slc
	v_min_u32_e32 v17, 8, v10
	v_and_b32_e32 v25, 3, v27
	v_add_u32_e32 v40, v25, v17
	v_cmp_lt_u32_e32 vcc, 4, v40
	v_mov_b32_e32 v25, 0
	v_mov_b32_e32 v30, 0
	s_and_saveexec_b64 s[72:73], vcc
	s_cbranch_execz .LBB2_61
; %bb.60:                               ;   in Loop: Header=BB2_59 Depth=2
	global_load_dword v30, v[19:20], off offset:4 glc slc
.LBB2_61:                               ;   in Loop: Header=BB2_59 Depth=2
	s_or_b64 exec, exec, s[72:73]
	v_cmp_lt_u64_e32 vcc, 8, v[40:41]
	s_and_saveexec_b64 s[72:73], vcc
	s_cbranch_execz .LBB2_58
; %bb.62:                               ;   in Loop: Header=BB2_59 Depth=2
	global_load_dword v25, v[19:20], off offset:8 glc slc
	s_branch .LBB2_58
.LBB2_63:                               ;   in Loop: Header=BB2_21 Depth=1
	s_or_b64 exec, exec, s[62:63]
.LBB2_64:                               ;   in Loop: Header=BB2_21 Depth=1
	s_or_b64 exec, exec, s[20:21]
	v_and_b32_e32 v40, 0x7ffffff8, v21
	v_cmp_eq_u64_e32 vcc, s[46:47], v[40:41]
	v_cmp_gt_i32_e64 s[20:21], s36, v29
	s_and_b64 s[20:21], vcc, s[20:21]
	s_and_saveexec_b64 s[62:63], s[20:21]
	s_cbranch_execz .LBB2_67
; %bb.65:                               ;   in Loop: Header=BB2_21 Depth=1
	v_mul_lo_u32 v9, v9, s36
	v_ashrrev_i32_e32 v30, 31, v29
	v_lshlrev_b64 v[19:20], 4, v[29:30]
	v_mov_b32_e32 v17, v41
	v_ashrrev_i32_e32 v10, 31, v9
	v_lshlrev_b64 v[9:10], 4, v[9:10]
	s_mov_b64 s[72:73], 0
	s_waitcnt lgkmcnt(0)
	v_add_co_u32_e32 v0, vcc, v19, v9
	v_addc_co_u32_e32 v9, vcc, v20, v10, vcc
	v_add_co_u32_e32 v27, vcc, v36, v0
	v_addc_co_u32_e32 v28, vcc, v37, v9, vcc
.LBB2_66:                               ;   Parent Loop BB2_21 Depth=1
                                        ; =>  This Inner Loop Header: Depth=2
	v_mov_b32_e32 v19, v17
	v_mov_b32_e32 v20, v18
	v_add_u32_e32 v29, v29, v1
	global_store_dwordx4 v[27:28], v[17:20], off
	v_add_co_u32_e32 v27, vcc, v27, v5
	v_cmp_le_i32_e64 s[20:21], s36, v29
	s_or_b64 s[72:73], s[20:21], s[72:73]
	v_addc_co_u32_e32 v28, vcc, v28, v6, vcc
	s_andn2_b64 exec, exec, s[72:73]
	s_cbranch_execnz .LBB2_66
.LBB2_67:                               ;   in Loop: Header=BB2_21 Depth=1
	s_or_b64 exec, exec, s[62:63]
	buffer_load_dword v9, off, s[0:3], s32 offset:128 ; 4-byte Folded Reload
	buffer_load_dword v10, off, s[0:3], s32 offset:132 ; 4-byte Folded Reload
	v_add_co_u32_e64 v46, s[20:21], 1, v21
	v_addc_co_u32_e64 v47, s[20:21], 0, v22, s[20:21]
	s_waitcnt vmcnt(0)
	v_add_co_u32_e32 v9, vcc, v42, v9
	buffer_store_dword v42, off, s[0:3], s32 offset:108 ; 4-byte Folded Spill
	s_nop 0
	buffer_store_dword v43, off, s[0:3], s32 offset:112 ; 4-byte Folded Spill
	v_addc_co_u32_e32 v10, vcc, v43, v10, vcc
	s_andn2_b64 vcc, exec, s[44:45]
	buffer_store_dword v9, off, s[0:3], s32 offset:116 ; 4-byte Folded Spill
	buffer_store_dword v10, off, s[0:3], s32 offset:120 ; 4-byte Folded Spill
	s_cbranch_vccnz .LBB2_502
; %bb.68:                               ;   in Loop: Header=BB2_21 Depth=1
	s_waitcnt lgkmcnt(0)
	buffer_load_dword v0, off, s[0:3], s32 offset:184 ; 4-byte Folded Reload
	v_add_u16_e32 v49, 1, v21
	s_mov_b32 s50, 2
	s_waitcnt vmcnt(0)
	v_add_co_u32_e32 v9, vcc, v0, v9
	buffer_load_dword v0, off, s[0:3], s32 offset:188 ; 4-byte Folded Reload
	s_waitcnt vmcnt(0)
	v_addc_co_u32_e32 v10, vcc, v0, v10, vcc
	buffer_store_dword v9, off, s[0:3], s32 offset:84 ; 4-byte Folded Spill
	s_nop 0
	buffer_store_dword v10, off, s[0:3], s32 offset:88 ; 4-byte Folded Spill
	s_branch .LBB2_70
.LBB2_69:                               ;   in Loop: Header=BB2_70 Depth=2
	s_or_b64 exec, exec, s[62:63]
	v_add_co_u32_e32 v34, vcc, 1, v34
	v_addc_co_u32_e32 v35, vcc, 0, v35, vcc
	s_add_i32 s50, s50, 1
	v_add_co_u32_e32 v46, vcc, 1, v46
	v_addc_co_u32_e32 v47, vcc, 0, v47, vcc
	s_cmp_eq_u32 s50, s22
	v_add_u16_e32 v49, 1, v49
	s_cbranch_scc1 .LBB2_501
.LBB2_70:                               ;   Parent Loop BB2_21 Depth=1
                                        ; =>  This Loop Header: Depth=2
                                        ;       Child Loop BB2_75 Depth 3
                                        ;       Child Loop BB2_94 Depth 3
	;; [unrolled: 1-line block ×3, first 2 shown]
                                        ;         Child Loop BB2_116 Depth 4
                                        ;       Child Loop BB2_484 Depth 3
                                        ;       Child Loop BB2_493 Depth 3
	s_sub_i32 s28, s22, s50
	s_lshl_b64 s[20:21], s[28:29], 2
	s_waitcnt vmcnt(0) lgkmcnt(0)
	v_mov_b32_e32 v0, s21
	v_add_co_u32_e32 v9, vcc, s20, v23
	v_addc_co_u32_e32 v10, vcc, v24, v0, vcc
	flat_load_dword v0, v[9:10]
	s_and_saveexec_b64 s[62:63], s[6:7]
	s_cbranch_execz .LBB2_86
; %bb.71:                               ;   in Loop: Header=BB2_70 Depth=2
	v_add_co_u32_e32 v17, vcc, 1, v15
	v_addc_co_u32_e32 v18, vcc, 0, v16, vcc
	v_add_co_u32_e32 v9, vcc, 8, v52
	v_addc_co_u32_e32 v10, vcc, 0, v53, vcc
	v_cmp_lt_u64_e32 vcc, v[9:10], v[17:18]
	s_and_saveexec_b64 s[72:73], vcc
	s_cbranch_execz .LBB2_83
; %bb.72:                               ;   in Loop: Header=BB2_70 Depth=2
	s_mov_b32 s28, 0
	v_cmp_eq_u32_e32 vcc, 0, v55
	s_mov_b64 s[74:75], 0
                                        ; implicit-def: $sgpr76_sgpr77
                                        ; implicit-def: $sgpr78_sgpr79
                                        ; implicit-def: $sgpr88_sgpr89
	s_branch .LBB2_75
.LBB2_73:                               ;   in Loop: Header=BB2_75 Depth=3
	s_or_b64 exec, exec, s[34:35]
	s_andn2_b64 s[20:21], s[88:89], exec
	s_and_b64 s[88:89], s[94:95], exec
	s_or_b64 s[88:89], s[20:21], s[88:89]
	s_andn2_b64 s[20:21], s[78:79], exec
	s_and_b64 s[78:79], s[92:93], exec
	s_or_b64 s[78:79], s[20:21], s[78:79]
.LBB2_74:                               ;   in Loop: Header=BB2_75 Depth=3
	s_or_b64 exec, exec, s[90:91]
	s_and_b64 s[20:21], exec, s[78:79]
	s_or_b64 s[74:75], s[20:21], s[74:75]
	s_andn2_b64 s[20:21], s[76:77], exec
	s_and_b64 s[76:77], s[88:89], exec
	s_or_b64 s[76:77], s[20:21], s[76:77]
	s_andn2_b64 exec, exec, s[74:75]
	s_cbranch_execz .LBB2_80
.LBB2_75:                               ;   Parent Loop BB2_21 Depth=1
                                        ;     Parent Loop BB2_70 Depth=2
                                        ; =>    This Inner Loop Header: Depth=3
	s_sleep 1
	s_waitcnt vmcnt(0) lgkmcnt(0)
	flat_load_dwordx2 v[52:53], v[50:51] glc
	v_mov_b32_e32 v55, 1
	s_or_b64 s[88:89], s[88:89], exec
	s_or_b64 s[78:79], s[78:79], exec
                                        ; implicit-def: $vgpr9
	s_and_saveexec_b64 s[90:91], vcc
	s_cbranch_execz .LBB2_74
; %bb.76:                               ;   in Loop: Header=BB2_75 Depth=3
	s_add_i32 s28, s28, 1
	s_cmpk_lg_i32 s28, 0x2710
	s_cselect_b64 s[30:31], -1, 0
	s_cmpk_eq_i32 s28, 0x2710
	s_mov_b64 s[92:93], -1
	s_mov_b64 s[94:95], -1
                                        ; implicit-def: $vgpr9
	s_cbranch_scc1 .LBB2_78
; %bb.77:                               ;   in Loop: Header=BB2_75 Depth=3
	v_mov_b32_e32 v55, 1
	s_and_saveexec_b64 s[34:35], s[30:31]
	s_cbranch_execz .LBB2_73
	s_branch .LBB2_79
.LBB2_78:                               ;   in Loop: Header=BB2_75 Depth=3
	s_trap 2
	s_waitcnt vmcnt(0) lgkmcnt(0)
	ds_read_b64 v[9:10], v0
	s_andn2_b64 s[30:31], s[30:31], exec
	s_mov_b32 s28, 0
	s_mov_b64 s[94:95], 0
	s_waitcnt lgkmcnt(0)
	flat_load_dword v9, v[9:10] glc
	s_waitcnt vmcnt(0) lgkmcnt(0)
	buffer_wbinvl1_vol
	v_cmp_eq_u32_e64 s[20:21], 0, v9
	s_and_b64 s[20:21], s[20:21], exec
	s_or_b64 s[30:31], s[30:31], s[20:21]
	v_mov_b32_e32 v55, 1
	s_and_saveexec_b64 s[34:35], s[30:31]
	s_cbranch_execz .LBB2_73
.LBB2_79:                               ;   in Loop: Header=BB2_75 Depth=3
	s_waitcnt vmcnt(0) lgkmcnt(0)
	v_add_co_u32_e64 v10, s[20:21], 8, v52
	v_addc_co_u32_e64 v11, s[20:21], 0, v53, s[20:21]
	v_cmp_ge_u64_e64 s[20:21], v[10:11], v[17:18]
	v_mov_b32_e32 v55, 0
	s_or_b64 s[94:95], s[94:95], exec
	s_orn2_b64 s[92:93], s[20:21], exec
	s_branch .LBB2_73
.LBB2_80:                               ;   in Loop: Header=BB2_70 Depth=2
	s_or_b64 exec, exec, s[74:75]
	s_xor_b64 s[20:21], s[76:77], -1
	s_and_saveexec_b64 s[74:75], s[20:21]
	s_xor_b64 s[20:21], exec, s[74:75]
	s_cbranch_execz .LBB2_82
; %bb.81:                               ;   in Loop: Header=BB2_70 Depth=2
	v_mov_b32_e32 v55, 1
	s_waitcnt vmcnt(0) lgkmcnt(0)
	ds_write_b32 v0, v9
	s_trap 2
.LBB2_82:                               ;   in Loop: Header=BB2_70 Depth=2
	s_or_b64 exec, exec, s[20:21]
.LBB2_83:                               ;   in Loop: Header=BB2_70 Depth=2
	s_or_b64 exec, exec, s[72:73]
	s_and_saveexec_b64 s[20:21], s[8:9]
	s_cbranch_execz .LBB2_85
; %bb.84:                               ;   in Loop: Header=BB2_70 Depth=2
	v_and_b32_e32 v40, 0x7ffffff8, v15
	v_and_b32_e32 v9, 7, v15
	buffer_load_dword v15, off, s[0:3], s32 offset:92 ; 4-byte Folded Reload
	v_mad_u64_u32 v[9:10], s[72:73], v9, 24, v[13:14]
	v_cmp_eq_u64_e32 vcc, s[46:47], v[40:41]
	v_mov_b32_e32 v11, s23
	s_waitcnt vmcnt(0)
	v_cndmask_b32_e32 v15, v15, v11, vcc
	v_ashrrev_i32_e32 v16, 31, v15
	flat_store_dwordx2 v[9:10], v[15:16] offset:8
	s_waitcnt vmcnt(0)
.LBB2_85:                               ;   in Loop: Header=BB2_70 Depth=2
	s_or_b64 exec, exec, s[20:21]
	v_mov_b32_e32 v15, v17
	v_mov_b32_e32 v16, v18
.LBB2_86:                               ;   in Loop: Header=BB2_70 Depth=2
	s_or_b64 exec, exec, s[62:63]
	s_and_saveexec_b64 s[20:21], s[10:11]
	s_cbranch_execz .LBB2_105
; %bb.87:                               ;   in Loop: Header=BB2_70 Depth=2
	s_and_saveexec_b64 s[62:63], s[42:43]
	s_xor_b64 s[62:63], exec, s[62:63]
	s_cbranch_execz .LBB2_102
; %bb.88:                               ;   in Loop: Header=BB2_70 Depth=2
	s_and_saveexec_b64 s[72:73], s[12:13]
	s_cbranch_execz .LBB2_101
; %bb.89:                               ;   in Loop: Header=BB2_70 Depth=2
	s_mov_b64 s[76:77], exec
	v_mbcnt_lo_u32_b32 v9, s76, 0
	v_mbcnt_hi_u32_b32 v9, s77, v9
	v_cmp_eq_u32_e32 vcc, 0, v9
	s_waitcnt vmcnt(0) lgkmcnt(0)
	buffer_wbinvl1_vol
	s_and_saveexec_b64 s[74:75], vcc
	s_cbranch_execz .LBB2_91
; %bb.90:                               ;   in Loop: Header=BB2_70 Depth=2
	s_bcnt1_i32_b64 s28, s[76:77]
	v_mov_b32_e32 v40, s28
	ds_add_u64 v0, v[40:41]
	s_trap 2
.LBB2_91:                               ;   in Loop: Header=BB2_70 Depth=2
	s_or_b64 exec, exec, s[74:75]
	s_trap 2
	ds_read_b64 v[9:10], v0
	s_waitcnt lgkmcnt(0)
	buffer_load_dword v11, off, s[0:3], s32 offset:96 ; 4-byte Folded Reload
	s_waitcnt vmcnt(0)
	v_add_co_u32_e32 v2, vcc, v2, v11
	v_addc_co_u32_e32 v3, vcc, 0, v3, vcc
	v_cmp_lt_u64_e32 vcc, v[9:10], v[2:3]
	s_and_saveexec_b64 s[74:75], vcc
	s_cbranch_execz .LBB2_100
; %bb.92:                               ;   in Loop: Header=BB2_70 Depth=2
	s_mov_b32 s28, 0
	s_mov_b64 s[76:77], 0
                                        ; implicit-def: $sgpr78_sgpr79
                                        ; implicit-def: $sgpr88_sgpr89
	s_branch .LBB2_94
.LBB2_93:                               ;   in Loop: Header=BB2_94 Depth=3
	s_or_b64 exec, exec, s[92:93]
	s_and_b64 s[90:91], exec, s[94:95]
	s_or_b64 s[76:77], s[90:91], s[76:77]
	s_andn2_b64 s[78:79], s[78:79], exec
	s_and_b64 s[90:91], s[88:89], exec
	s_or_b64 s[78:79], s[78:79], s[90:91]
	s_andn2_b64 exec, exec, s[76:77]
	s_cbranch_execz .LBB2_98
.LBB2_94:                               ;   Parent Loop BB2_21 Depth=1
                                        ;     Parent Loop BB2_70 Depth=2
                                        ; =>    This Inner Loop Header: Depth=3
	s_add_i32 s28, s28, 1
	s_cmpk_lg_i32 s28, 0x2710
	s_cselect_b64 s[90:91], -1, 0
	s_and_b64 vcc, exec, s[90:91]
	s_cbranch_vccz .LBB2_96
; %bb.95:                               ;   in Loop: Header=BB2_94 Depth=3
	s_mov_b64 s[94:95], -1
	s_or_b64 s[88:89], s[88:89], exec
	s_and_saveexec_b64 s[92:93], s[90:91]
	s_cbranch_execz .LBB2_93
	s_branch .LBB2_97
.LBB2_96:                               ;   in Loop: Header=BB2_94 Depth=3
	s_trap 2
	ds_read_b64 v[9:10], v0
	s_andn2_b64 s[90:91], s[90:91], exec
	s_mov_b32 s28, 0
	s_waitcnt lgkmcnt(0)
	flat_load_dword v9, v[9:10] glc
	s_waitcnt vmcnt(0) lgkmcnt(0)
	buffer_wbinvl1_vol
	v_cmp_eq_u32_e32 vcc, 0, v9
	s_and_b64 s[92:93], vcc, exec
	s_or_b64 s[90:91], s[90:91], s[92:93]
	s_mov_b64 s[94:95], -1
	s_or_b64 s[88:89], s[88:89], exec
	s_and_saveexec_b64 s[92:93], s[90:91]
	s_cbranch_execz .LBB2_93
.LBB2_97:                               ;   in Loop: Header=BB2_94 Depth=3
	s_sleep 1
	s_trap 2
	ds_read_b64 v[9:10], v0
	s_waitcnt lgkmcnt(0)
	s_andn2_b64 s[88:89], s[88:89], exec
	v_cmp_ge_u64_e32 vcc, v[9:10], v[2:3]
	s_orn2_b64 s[94:95], vcc, exec
	s_branch .LBB2_93
.LBB2_98:                               ;   in Loop: Header=BB2_70 Depth=2
	s_or_b64 exec, exec, s[76:77]
	s_and_saveexec_b64 s[76:77], s[78:79]
	s_xor_b64 s[76:77], exec, s[76:77]
	s_cbranch_execz .LBB2_100
; %bb.99:                               ;   in Loop: Header=BB2_70 Depth=2
	v_mov_b32_e32 v9, 1
	ds_write_b32 v0, v9
	s_trap 2
.LBB2_100:                              ;   in Loop: Header=BB2_70 Depth=2
	s_or_b64 exec, exec, s[74:75]
	;;#ASMSTART
	s_wakeup
	;;#ASMEND
.LBB2_101:                              ;   in Loop: Header=BB2_70 Depth=2
	s_or_b64 exec, exec, s[72:73]
.LBB2_102:                              ;   in Loop: Header=BB2_70 Depth=2
	s_andn2_saveexec_b64 s[62:63], s[62:63]
	s_cbranch_execz .LBB2_104
; %bb.103:                              ;   in Loop: Header=BB2_70 Depth=2
	s_waitcnt vmcnt(0) lgkmcnt(0)
	buffer_wbinvl1_vol
	s_barrier
.LBB2_104:                              ;   in Loop: Header=BB2_70 Depth=2
	s_or_b64 exec, exec, s[62:63]
.LBB2_105:                              ;   in Loop: Header=BB2_70 Depth=2
	s_or_b64 exec, exec, s[20:21]
	v_add_u32_e32 v18, 1, v46
	v_mov_b32_e32 v58, v4
	s_and_saveexec_b64 s[62:63], s[18:19]
	s_cbranch_execz .LBB2_476
; %bb.106:                              ;   in Loop: Header=BB2_70 Depth=2
	buffer_load_dword v11, off, s[0:3], s32 offset:64 ; 4-byte Folded Reload
	buffer_load_dword v19, off, s[0:3], s32 offset:84 ; 4-byte Folded Reload
	;; [unrolled: 1-line block ×4, first 2 shown]
	s_waitcnt vmcnt(0) lgkmcnt(0)
	v_ashrrev_i32_e32 v9, 31, v0
	s_mov_b64 s[72:73], 0
	v_mov_b32_e32 v58, v4
	v_mad_u64_u32 v[60:61], s[20:21], v11, v0, v[19:20]
	buffer_load_dword v20, off, s[0:3], s32 offset:76 ; 4-byte Folded Reload
	buffer_load_dword v21, off, s[0:3], s32 offset:80 ; 4-byte Folded Reload
	v_mul_lo_u32 v0, v10, v0
	v_mul_lo_u32 v10, v11, v9
	v_and_b32_e32 v9, 7, v34
	v_mul_lo_u32 v9, v9, s36
	v_add3_u32 v61, v0, v61, v10
	v_and_b32_e32 v0, 7, v46
	v_mul_lo_u32 v19, v0, s36
	v_ashrrev_i32_e32 v10, 31, v9
	v_lshlrev_b64 v[9:10], 4, v[9:10]
	s_waitcnt vmcnt(1)
	v_add_co_u32_e32 v31, vcc, v20, v9
	v_ashrrev_i32_e32 v20, 31, v19
	s_waitcnt vmcnt(0)
	v_addc_co_u32_e32 v48, vcc, v21, v10, vcc
	v_lshlrev_b64 v[10:11], 4, v[19:20]
	v_add_u32_e32 v9, 1, v34
	v_add_co_u32_e32 v10, vcc, v36, v10
	v_addc_co_u32_e32 v25, vcc, v37, v11, vcc
	v_mov_b32_e32 v11, v32
	s_branch .LBB2_108
.LBB2_107:                              ;   in Loop: Header=BB2_108 Depth=3
	s_or_b64 exec, exec, s[20:21]
	v_add_co_u32_e32 v60, vcc, v60, v12
	v_addc_co_u32_e32 v61, vcc, 0, v61, vcc
	v_add_co_u32_e32 v21, vcc, v10, v29
	v_lshlrev_b32_e32 v0, 8, v59
	v_lshlrev_b32_e32 v19, 16, v42
	;; [unrolled: 1-line block ×5, first 2 shown]
	v_addc_co_u32_e32 v22, vcc, v25, v30, vcc
	v_sub_u32_e32 v11, v11, v12
	v_or3_b32 v0, v0, v33, v19
	v_lshlrev_b32_e32 v19, 24, v43
	v_or3_b32 v20, v20, v44, v17
	v_cmp_gt_i32_e32 vcc, 1, v11
	v_or3_b32 v17, v0, v19, 0
	v_or3_b32 v19, v20, v28, 0
	v_mov_b32_e32 v20, v18
	s_or_b64 s[72:73], vcc, s[72:73]
	v_add_u32_e32 v58, v58, v1
	global_store_dwordx4 v[21:22], v[17:20], off
	s_andn2_b64 exec, exec, s[72:73]
	s_cbranch_execz .LBB2_488
.LBB2_108:                              ;   Parent Loop BB2_21 Depth=1
                                        ;     Parent Loop BB2_70 Depth=2
                                        ; =>    This Loop Header: Depth=3
                                        ;         Child Loop BB2_116 Depth 4
	v_and_b32_e32 v19, -4, v60
	v_mov_b32_e32 v20, v61
	global_load_dword v0, v[19:20], off glc slc
	v_min_u32_e32 v17, 8, v11
	v_and_b32_e32 v21, 3, v60
	v_add_u32_e32 v40, v21, v17
	v_cmp_lt_u32_e32 vcc, 4, v40
	v_mov_b32_e32 v44, 0
	v_mov_b32_e32 v45, 0
	s_and_saveexec_b64 s[20:21], vcc
	s_cbranch_execz .LBB2_110
; %bb.109:                              ;   in Loop: Header=BB2_108 Depth=3
	global_load_dword v45, v[19:20], off offset:4 glc slc
.LBB2_110:                              ;   in Loop: Header=BB2_108 Depth=3
	s_or_b64 exec, exec, s[20:21]
	v_cmp_lt_u64_e32 vcc, 8, v[40:41]
	s_and_saveexec_b64 s[20:21], vcc
	s_cbranch_execz .LBB2_112
; %bb.111:                              ;   in Loop: Header=BB2_108 Depth=3
	global_load_dword v44, v[19:20], off offset:8 glc slc
.LBB2_112:                              ;   in Loop: Header=BB2_108 Depth=3
	s_or_b64 exec, exec, s[20:21]
	v_mov_b32_e32 v59, v41
	v_lshlrev_b64 v[29:30], 4, v[58:59]
	v_add_co_u32_e32 v27, vcc, v31, v29
	v_addc_co_u32_e32 v28, vcc, v48, v30, vcc
	global_load_dwordx4 v[19:22], v[27:28], off glc slc
	v_cmp_eq_u32_e32 vcc, 0, v55
	v_mov_b32_e32 v55, 1
	s_and_saveexec_b64 s[74:75], vcc
	s_cbranch_execz .LBB2_124
; %bb.113:                              ;   in Loop: Header=BB2_108 Depth=3
	s_waitcnt vmcnt(0)
	v_cmp_ne_u32_e32 vcc, v9, v20
	v_cmp_ne_u32_e64 s[20:21], v9, v22
	s_or_b64 s[20:21], vcc, s[20:21]
	v_mov_b32_e32 v55, 0
	s_and_saveexec_b64 s[76:77], s[20:21]
	s_cbranch_execz .LBB2_123
; %bb.114:                              ;   in Loop: Header=BB2_108 Depth=3
	s_mov_b32 s28, 1
	s_mov_b64 s[88:89], 0
                                        ; implicit-def: $sgpr78_sgpr79
                                        ; implicit-def: $sgpr90_sgpr91
	s_branch .LBB2_116
.LBB2_115:                              ;   in Loop: Header=BB2_116 Depth=4
	s_or_b64 exec, exec, s[94:95]
	s_and_b64 s[20:21], exec, s[20:21]
	s_or_b64 s[88:89], s[20:21], s[88:89]
	s_andn2_b64 s[20:21], s[78:79], exec
	s_and_b64 s[78:79], s[90:91], exec
	s_or_b64 s[78:79], s[20:21], s[78:79]
	s_andn2_b64 exec, exec, s[88:89]
	s_cbranch_execz .LBB2_120
.LBB2_116:                              ;   Parent Loop BB2_21 Depth=1
                                        ;     Parent Loop BB2_70 Depth=2
                                        ;       Parent Loop BB2_108 Depth=3
                                        ; =>      This Inner Loop Header: Depth=4
	global_load_dwordx4 v[19:22], v[27:28], off glc slc
	s_add_i32 s28, s28, 1
	s_mov_b64 s[20:21], -1
	s_cmpk_lg_i32 s28, 0x2710
	s_mov_b64 s[92:93], -1
                                        ; implicit-def: $vgpr17
	s_cbranch_scc0 .LBB2_118
; %bb.117:                              ;   in Loop: Header=BB2_116 Depth=4
	s_or_b64 s[90:91], s[90:91], exec
	s_and_saveexec_b64 s[94:95], s[92:93]
	s_cbranch_execz .LBB2_115
	s_branch .LBB2_119
.LBB2_118:                              ;   in Loop: Header=BB2_116 Depth=4
	s_trap 2
	ds_read_b64 v[42:43], v0
	s_mov_b32 s28, 0
	s_waitcnt vmcnt(0) lgkmcnt(0)
	flat_load_dword v17, v[42:43] glc
	s_waitcnt vmcnt(0) lgkmcnt(0)
	buffer_wbinvl1_vol
	v_cmp_eq_u32_e32 vcc, 0, v17
	s_orn2_b64 s[92:93], vcc, exec
	s_or_b64 s[90:91], s[90:91], exec
	s_and_saveexec_b64 s[94:95], s[92:93]
	s_cbranch_execz .LBB2_115
.LBB2_119:                              ;   in Loop: Header=BB2_116 Depth=4
	s_waitcnt vmcnt(0)
	v_cmp_eq_u32_e32 vcc, v9, v20
	v_cmp_eq_u32_e64 s[20:21], v9, v22
	s_and_b64 s[20:21], vcc, s[20:21]
	s_andn2_b64 s[90:91], s[90:91], exec
	s_orn2_b64 s[20:21], s[20:21], exec
	s_branch .LBB2_115
.LBB2_120:                              ;   in Loop: Header=BB2_108 Depth=3
	s_or_b64 exec, exec, s[88:89]
	v_mov_b32_e32 v55, 0
	s_and_saveexec_b64 s[20:21], s[78:79]
	s_xor_b64 s[20:21], exec, s[20:21]
	s_cbranch_execz .LBB2_122
; %bb.121:                              ;   in Loop: Header=BB2_108 Depth=3
	v_mov_b32_e32 v55, 1
	ds_write_b32 v0, v17
	s_trap 2
.LBB2_122:                              ;   in Loop: Header=BB2_108 Depth=3
	s_or_b64 exec, exec, s[20:21]
.LBB2_123:                              ;   in Loop: Header=BB2_108 Depth=3
	s_or_b64 exec, exec, s[76:77]
.LBB2_124:                              ;   in Loop: Header=BB2_108 Depth=3
	s_or_b64 exec, exec, s[74:75]
	s_waitcnt vmcnt(0)
	v_lshlrev_b32_e32 v22, 3, v60
	v_alignbit_b32 v40, v45, v0, v22
	v_cmp_ne_u16_sdwa s[20:21], v19, v41 src0_sel:BYTE_0 src1_sel:DWORD
                                        ; implicit-def: $vgpr17
	s_and_saveexec_b64 s[74:75], s[14:15]
	s_xor_b64 s[74:75], exec, s[74:75]
	s_cbranch_execz .LBB2_138
; %bb.125:                              ;   in Loop: Header=BB2_108 Depth=3
	v_mov_b32_e32 v17, 0
	v_mov_b32_e32 v0, 0
	s_and_saveexec_b64 s[76:77], s[20:21]
	s_cbranch_execz .LBB2_131
; %bb.126:                              ;   in Loop: Header=BB2_108 Depth=3
	v_cmp_ne_u16_sdwa s[88:89], v19, s38 src0_sel:BYTE_0 src1_sel:DWORD
	v_bfrev_b32_e32 v0, 1
	s_and_saveexec_b64 s[78:79], s[88:89]
	s_cbranch_execz .LBB2_130
; %bb.127:                              ;   in Loop: Header=BB2_108 Depth=3
	v_and_b32_e32 v27, 0x7f, v19
	v_cmp_ne_u32_e32 vcc, s39, v27
	v_mov_b32_e32 v0, 0x7f800001
	s_and_saveexec_b64 s[88:89], vcc
	s_cbranch_execz .LBB2_129
; %bb.128:                              ;   in Loop: Header=BB2_108 Depth=3
	v_and_b32_e32 v0, 7, v19
	v_ffbh_u32_e32 v0, v0
	v_min_u32_e32 v0, 32, v0
	v_lshrrev_b32_e32 v28, 3, v27
	v_cmp_gt_u32_e32 vcc, 8, v27
	v_subrev_u32_e32 v27, 28, v0
	v_sub_u32_e32 v0, 29, v0
	v_cndmask_b32_e32 v27, 0, v27, vcc
	v_cndmask_b32_e32 v0, v28, v0, vcc
	v_lshlrev_b64 v[27:28], v27, v[19:20]
	v_lshlrev_b32_e32 v28, 24, v19
	v_lshlrev_b32_e32 v27, 20, v27
	v_and_b32_e32 v27, 0x700000, v27
	v_and_b32_e32 v28, 0x80000000, v28
	v_lshl_add_u32 v0, v0, 23, v26
	v_or3_b32 v0, v28, v0, v27
.LBB2_129:                              ;   in Loop: Header=BB2_108 Depth=3
	s_or_b64 exec, exec, s[88:89]
.LBB2_130:                              ;   in Loop: Header=BB2_108 Depth=3
	s_or_b64 exec, exec, s[78:79]
.LBB2_131:                              ;   in Loop: Header=BB2_108 Depth=3
	s_or_b64 exec, exec, s[76:77]
	v_cmp_ne_u16_sdwa s[78:79], v40, v41 src0_sel:BYTE_0 src1_sel:DWORD
	s_and_saveexec_b64 s[76:77], s[78:79]
	s_cbranch_execz .LBB2_137
; %bb.132:                              ;   in Loop: Header=BB2_108 Depth=3
	v_cmp_ne_u16_sdwa s[88:89], v40, s38 src0_sel:BYTE_0 src1_sel:DWORD
	v_bfrev_b32_e32 v17, 1
	s_and_saveexec_b64 s[78:79], s[88:89]
	s_cbranch_execz .LBB2_136
; %bb.133:                              ;   in Loop: Header=BB2_108 Depth=3
	v_and_b32_e32 v27, 0x7f, v40
	v_cmp_ne_u32_e32 vcc, s39, v27
	v_mov_b32_e32 v17, 0x7f800001
	s_and_saveexec_b64 s[88:89], vcc
	s_cbranch_execz .LBB2_135
; %bb.134:                              ;   in Loop: Header=BB2_108 Depth=3
	v_and_b32_e32 v17, 7, v40
	v_ffbh_u32_e32 v17, v17
	v_min_u32_e32 v17, 32, v17
	v_lshrrev_b32_e32 v28, 3, v27
	v_cmp_gt_u32_e32 vcc, 8, v27
	v_subrev_u32_e32 v27, 28, v17
	v_sub_u32_e32 v17, 29, v17
	v_cndmask_b32_e32 v27, 0, v27, vcc
	v_cndmask_b32_e32 v17, v28, v17, vcc
	v_lshlrev_b64 v[27:28], v27, v[40:41]
	v_lshlrev_b32_e32 v28, 24, v40
	v_lshlrev_b32_e32 v27, 20, v27
	v_and_b32_e32 v27, 0x700000, v27
	v_and_b32_e32 v28, 0x80000000, v28
	v_lshl_add_u32 v17, v17, 23, v26
	v_or3_b32 v17, v28, v17, v27
.LBB2_135:                              ;   in Loop: Header=BB2_108 Depth=3
	s_or_b64 exec, exec, s[88:89]
.LBB2_136:                              ;   in Loop: Header=BB2_108 Depth=3
	s_or_b64 exec, exec, s[78:79]
.LBB2_137:                              ;   in Loop: Header=BB2_108 Depth=3
	s_or_b64 exec, exec, s[76:77]
	v_max_f32_e32 v17, v17, v17
	v_max_f32_e32 v0, v0, v0
	;; [unrolled: 1-line block ×3, first 2 shown]
.LBB2_138:                              ;   in Loop: Header=BB2_108 Depth=3
	s_andn2_saveexec_b64 s[74:75], s[74:75]
	s_cbranch_execz .LBB2_152
; %bb.139:                              ;   in Loop: Header=BB2_108 Depth=3
	v_mov_b32_e32 v17, 0
	v_mov_b32_e32 v0, 0
	s_and_saveexec_b64 s[76:77], s[20:21]
	s_cbranch_execz .LBB2_145
; %bb.140:                              ;   in Loop: Header=BB2_108 Depth=3
	v_cmp_ne_u16_sdwa s[78:79], v19, s38 src0_sel:BYTE_0 src1_sel:DWORD
	v_bfrev_b32_e32 v0, 1
	s_and_saveexec_b64 s[20:21], s[78:79]
	s_cbranch_execz .LBB2_144
; %bb.141:                              ;   in Loop: Header=BB2_108 Depth=3
	v_and_b32_e32 v27, 0x7f, v19
	v_cmp_ne_u32_e32 vcc, s39, v27
	v_mov_b32_e32 v0, 0x7f800001
	s_and_saveexec_b64 s[78:79], vcc
	s_cbranch_execz .LBB2_143
; %bb.142:                              ;   in Loop: Header=BB2_108 Depth=3
	v_and_b32_e32 v0, 7, v19
	v_ffbh_u32_e32 v0, v0
	v_min_u32_e32 v0, 32, v0
	v_lshrrev_b32_e32 v28, 3, v27
	v_cmp_gt_u32_e32 vcc, 8, v27
	v_subrev_u32_e32 v27, 28, v0
	v_sub_u32_e32 v0, 29, v0
	v_cndmask_b32_e32 v27, 0, v27, vcc
	v_cndmask_b32_e32 v0, v28, v0, vcc
	v_lshlrev_b64 v[27:28], v27, v[19:20]
	v_lshl_add_u32 v0, v0, 23, v26
	v_lshlrev_b32_e32 v20, 20, v27
	v_lshlrev_b32_e32 v27, 24, v19
	v_and_b32_e32 v20, 0x700000, v20
	v_and_b32_e32 v27, 0x80000000, v27
	v_or3_b32 v0, v27, v0, v20
.LBB2_143:                              ;   in Loop: Header=BB2_108 Depth=3
	s_or_b64 exec, exec, s[78:79]
.LBB2_144:                              ;   in Loop: Header=BB2_108 Depth=3
	s_or_b64 exec, exec, s[20:21]
.LBB2_145:                              ;   in Loop: Header=BB2_108 Depth=3
	s_or_b64 exec, exec, s[76:77]
	v_cmp_ne_u16_sdwa s[76:77], v40, v41 src0_sel:BYTE_0 src1_sel:DWORD
	s_and_saveexec_b64 s[20:21], s[76:77]
	s_cbranch_execz .LBB2_151
; %bb.146:                              ;   in Loop: Header=BB2_108 Depth=3
	v_cmp_ne_u16_sdwa s[78:79], v40, s38 src0_sel:BYTE_0 src1_sel:DWORD
	v_bfrev_b32_e32 v17, 1
	s_and_saveexec_b64 s[76:77], s[78:79]
	s_cbranch_execz .LBB2_150
; %bb.147:                              ;   in Loop: Header=BB2_108 Depth=3
	v_and_b32_e32 v20, 0x7f, v40
	v_cmp_ne_u32_e32 vcc, s39, v20
	v_mov_b32_e32 v17, 0x7f800001
	s_and_saveexec_b64 s[78:79], vcc
	s_cbranch_execz .LBB2_149
; %bb.148:                              ;   in Loop: Header=BB2_108 Depth=3
	v_and_b32_e32 v17, 7, v40
	v_ffbh_u32_e32 v17, v17
	v_min_u32_e32 v17, 32, v17
	v_lshrrev_b32_e32 v27, 3, v20
	v_cmp_gt_u32_e32 vcc, 8, v20
	v_subrev_u32_e32 v20, 28, v17
	v_sub_u32_e32 v17, 29, v17
	v_cndmask_b32_e32 v20, 0, v20, vcc
	v_cndmask_b32_e32 v17, v27, v17, vcc
	v_lshlrev_b64 v[27:28], v20, v[40:41]
	v_lshl_add_u32 v17, v17, 23, v26
	v_lshlrev_b32_e32 v20, 20, v27
	v_lshlrev_b32_e32 v27, 24, v40
	v_and_b32_e32 v20, 0x700000, v20
	v_and_b32_e32 v27, 0x80000000, v27
	v_or3_b32 v17, v27, v17, v20
.LBB2_149:                              ;   in Loop: Header=BB2_108 Depth=3
	s_or_b64 exec, exec, s[78:79]
.LBB2_150:                              ;   in Loop: Header=BB2_108 Depth=3
	s_or_b64 exec, exec, s[76:77]
.LBB2_151:                              ;   in Loop: Header=BB2_108 Depth=3
	s_or_b64 exec, exec, s[20:21]
	v_max_f32_e32 v17, v17, v17
	v_max_f32_e32 v0, v0, v0
	v_min_f32_e32 v17, v0, v17
.LBB2_152:                              ;   in Loop: Header=BB2_108 Depth=3
	s_or_b64 exec, exec, s[74:75]
	v_and_b32_e32 v27, 0x7f800000, v17
	v_mov_b32_e32 v28, v41
	v_cmp_ne_u64_e32 vcc, s[56:57], v[27:28]
                                        ; implicit-def: $vgpr33
	s_and_saveexec_b64 s[20:21], vcc
	s_xor_b64 s[74:75], exec, s[20:21]
	s_cbranch_execz .LBB2_166
; %bb.153:                              ;   in Loop: Header=BB2_108 Depth=3
	v_and_b32_e32 v27, 0x7fffffff, v17
	v_mov_b32_e32 v28, v41
	v_cmp_gt_u64_e32 vcc, s[58:59], v[27:28]
	v_and_b32_sdwa v0, v17, s38 dst_sel:DWORD dst_unused:UNUSED_PAD src0_sel:BYTE_3 src1_sel:DWORD
                                        ; implicit-def: $vgpr33
	s_and_saveexec_b64 s[20:21], vcc
	s_xor_b64 s[76:77], exec, s[20:21]
	s_cbranch_execz .LBB2_163
; %bb.154:                              ;   in Loop: Header=BB2_108 Depth=3
	v_mov_b32_e32 v33, 0
	v_cmp_ne_u32_e32 vcc, 0, v17
	s_and_saveexec_b64 s[78:79], vcc
	s_cbranch_execz .LBB2_162
; %bb.155:                              ;   in Loop: Header=BB2_108 Depth=3
	v_and_b32_e32 v27, 0x7fffff, v17
	v_bfe_u32 v17, v17, 23, 8
	v_cmp_gt_u32_e64 s[20:21], s48, v17
	v_sub_u32_e32 v20, 0x79, v17
	v_cmp_eq_u32_e32 vcc, 0, v17
	v_cndmask_b32_e64 v20, 0, v20, s[20:21]
	v_cndmask_b32_e32 v20, v20, v7, vcc
	v_add_u32_e32 v33, 20, v20
	v_or_b32_e32 v28, 0x800000, v27
	v_lshlrev_b64 v[42:43], v33, -1
	v_cndmask_b32_e32 v27, v28, v27, vcc
	v_mov_b32_e32 v28, v41
	v_add_u32_e32 v33, 19, v20
	v_bfi_b32 v42, v42, 0, v27
	v_lshlrev_b64 v[56:57], v33, 1
	v_lshrrev_b64 v[27:28], v20, v[27:28]
	v_bfi_b32 v43, v43, 0, 0
	v_cmp_eq_u64_e64 s[20:21], v[42:43], v[56:57]
	v_mov_b32_e32 v43, v28
	v_mov_b32_e32 v42, v27
	s_and_saveexec_b64 s[88:89], s[20:21]
; %bb.156:                              ;   in Loop: Header=BB2_108 Depth=3
	v_bfe_u32 v28, v27, 20, 1
	v_add_co_u32_e64 v28, s[20:21], v27, v28
	v_add_co_u32_e64 v42, s[20:21], -1, v28
; %bb.157:                              ;   in Loop: Header=BB2_108 Depth=3
	s_or_b64 exec, exec, s[88:89]
	v_add_u32_e32 v17, 0xffffff81, v17
	v_cndmask_b32_e32 v17, v17, v8, vcc
	v_lshrrev_b32_e32 v28, 23, v27
	v_add3_u32 v33, v20, v17, v28
	v_add_u32_e32 v20, 6, v33
	v_and_b32_e32 v17, 0xfffff, v42
	v_add_u32_e32 v27, v17, v27
	v_mov_b32_e32 v28, v41
	v_cmp_ne_u32_e32 vcc, 0, v20
                                        ; implicit-def: $vgpr17
	s_and_saveexec_b64 s[20:21], vcc
	s_xor_b64 s[20:21], exec, s[20:21]
; %bb.158:                              ;   in Loop: Header=BB2_108 Depth=3
	v_cmp_lt_u64_e32 vcc, s[60:61], v[27:28]
	v_add_u32_e32 v17, 7, v33
	v_cndmask_b32_e32 v17, v20, v17, vcc
	v_cndmask_b32_e64 v20, 0, 1, vcc
	v_lshrrev_b64 v[27:28], v20, v[27:28]
; %bb.159:                              ;   in Loop: Header=BB2_108 Depth=3
	s_andn2_saveexec_b64 s[20:21], s[20:21]
; %bb.160:                              ;   in Loop: Header=BB2_108 Depth=3
	v_bfe_u32 v17, v27, 23, 1
; %bb.161:                              ;   in Loop: Header=BB2_108 Depth=3
	s_or_b64 exec, exec, s[20:21]
	v_lshrrev_b64 v[27:28], 20, v[27:28]
	v_cmp_gt_i32_e32 vcc, 16, v17
	v_cndmask_b32_e32 v28, 0, v28, vcc
	v_cndmask_b32_e32 v27, 7, v27, vcc
	v_cmp_eq_u32_e32 vcc, 0, v17
	v_min_i32_e32 v17, 15, v17
	v_cmp_eq_u64_e64 s[20:21], 0, v[27:28]
	v_lshlrev_b32_e32 v17, 3, v17
	v_and_b32_e32 v17, 0xf8, v17
	v_and_or_b32 v17, v27, 7, v17
	s_and_b64 s[20:21], vcc, s[20:21]
	v_cndmask_b32_e64 v17, v17, 0, s[20:21]
	v_or_b32_e32 v33, v17, v0
.LBB2_162:                              ;   in Loop: Header=BB2_108 Depth=3
	s_or_b64 exec, exec, s[78:79]
                                        ; implicit-def: $vgpr0
.LBB2_163:                              ;   in Loop: Header=BB2_108 Depth=3
	s_andn2_saveexec_b64 s[20:21], s[76:77]
; %bb.164:                              ;   in Loop: Header=BB2_108 Depth=3
	v_or_b32_e32 v33, 0x7e, v0
; %bb.165:                              ;   in Loop: Header=BB2_108 Depth=3
	s_or_b64 exec, exec, s[20:21]
                                        ; implicit-def: $vgpr17
.LBB2_166:                              ;   in Loop: Header=BB2_108 Depth=3
	s_andn2_saveexec_b64 s[20:21], s[74:75]
; %bb.167:                              ;   in Loop: Header=BB2_108 Depth=3
	v_or_b32_sdwa v33, v17, s39 dst_sel:DWORD dst_unused:UNUSED_PAD src0_sel:BYTE_3 src1_sel:DWORD
; %bb.168:                              ;   in Loop: Header=BB2_108 Depth=3
	s_or_b64 exec, exec, s[20:21]
	v_lshrrev_b16_e32 v17, 8, v19
	v_lshrrev_b16_e32 v0, 8, v40
	v_cmp_ne_u16_e32 vcc, 0, v17
                                        ; implicit-def: $vgpr20
	s_and_saveexec_b64 s[20:21], s[14:15]
	s_xor_b64 s[74:75], exec, s[20:21]
	s_cbranch_execz .LBB2_182
; %bb.169:                              ;   in Loop: Header=BB2_108 Depth=3
	v_mov_b32_e32 v27, 0
	v_mov_b32_e32 v20, 0
	s_and_saveexec_b64 s[76:77], vcc
	s_cbranch_execz .LBB2_175
; %bb.170:                              ;   in Loop: Header=BB2_108 Depth=3
	v_cmp_ne_u16_e64 s[20:21], s38, v17
	v_bfrev_b32_e32 v20, 1
	s_and_saveexec_b64 s[78:79], s[20:21]
	s_cbranch_execz .LBB2_174
; %bb.171:                              ;   in Loop: Header=BB2_108 Depth=3
	v_and_b32_e32 v28, 0x7f, v17
	v_cmp_ne_u32_e64 s[20:21], s39, v28
	v_mov_b32_e32 v20, 0x7f800001
	s_and_saveexec_b64 s[88:89], s[20:21]
	s_cbranch_execz .LBB2_173
; %bb.172:                              ;   in Loop: Header=BB2_108 Depth=3
	v_and_b32_e32 v20, 7, v17
	v_lshrrev_b32_e32 v56, 3, v28
	v_cmp_gt_u32_e64 s[20:21], 8, v28
	v_ffbh_u32_e32 v28, v20
	v_min_u32_e32 v28, 32, v28
	v_subrev_u32_e32 v42, 28, v28
	v_lshlrev_b64 v[42:43], v42, v[17:18]
	v_sub_u32_e32 v17, 29, v28
	v_and_b32_e32 v28, 7, v42
	v_cndmask_b32_e64 v17, v56, v17, s[20:21]
	v_cndmask_b32_e64 v20, v20, v28, s[20:21]
	v_lshlrev_b32_e32 v28, 16, v19
	v_lshlrev_b32_e32 v20, 20, v20
	v_and_b32_e32 v28, 0x80000000, v28
	v_lshl_add_u32 v17, v17, 23, v26
	v_or3_b32 v20, v28, v17, v20
.LBB2_173:                              ;   in Loop: Header=BB2_108 Depth=3
	s_or_b64 exec, exec, s[88:89]
.LBB2_174:                              ;   in Loop: Header=BB2_108 Depth=3
	s_or_b64 exec, exec, s[78:79]
.LBB2_175:                              ;   in Loop: Header=BB2_108 Depth=3
	s_or_b64 exec, exec, s[76:77]
	v_cmp_ne_u16_e64 s[20:21], 0, v0
	s_and_saveexec_b64 s[76:77], s[20:21]
	s_cbranch_execz .LBB2_181
; %bb.176:                              ;   in Loop: Header=BB2_108 Depth=3
	v_cmp_ne_u16_e64 s[20:21], s38, v0
	v_bfrev_b32_e32 v27, 1
	s_and_saveexec_b64 s[78:79], s[20:21]
	s_cbranch_execz .LBB2_180
; %bb.177:                              ;   in Loop: Header=BB2_108 Depth=3
	v_and_b32_e32 v17, 0x7f, v0
	v_cmp_ne_u32_e64 s[20:21], s39, v17
	v_mov_b32_e32 v27, 0x7f800001
	s_and_saveexec_b64 s[88:89], s[20:21]
	s_cbranch_execz .LBB2_179
; %bb.178:                              ;   in Loop: Header=BB2_108 Depth=3
	v_and_b32_e32 v42, 7, v0
	v_lshrrev_b32_e32 v43, 3, v17
	v_cmp_gt_u32_e64 s[20:21], 8, v17
	v_ffbh_u32_e32 v17, v42
	v_min_u32_e32 v17, 32, v17
	v_subrev_u32_e32 v27, 28, v17
	v_lshlrev_b64 v[27:28], v27, v[0:1]
	v_sub_u32_e32 v0, 29, v17
	v_and_b32_e32 v17, 7, v27
	v_cndmask_b32_e64 v0, v43, v0, s[20:21]
	v_cndmask_b32_e64 v17, v42, v17, s[20:21]
	v_lshlrev_b32_e32 v27, 16, v40
	v_lshlrev_b32_e32 v17, 20, v17
	v_and_b32_e32 v27, 0x80000000, v27
	v_lshl_add_u32 v0, v0, 23, v26
	v_or3_b32 v27, v27, v0, v17
.LBB2_179:                              ;   in Loop: Header=BB2_108 Depth=3
	s_or_b64 exec, exec, s[88:89]
.LBB2_180:                              ;   in Loop: Header=BB2_108 Depth=3
	s_or_b64 exec, exec, s[78:79]
.LBB2_181:                              ;   in Loop: Header=BB2_108 Depth=3
	s_or_b64 exec, exec, s[76:77]
	v_max_f32_e32 v0, v27, v27
	v_max_f32_e32 v17, v20, v20
	;; [unrolled: 1-line block ×3, first 2 shown]
                                        ; implicit-def: $vgpr0
                                        ; implicit-def: $vgpr17
.LBB2_182:                              ;   in Loop: Header=BB2_108 Depth=3
	s_andn2_saveexec_b64 s[20:21], s[74:75]
	s_cbranch_execz .LBB2_196
; %bb.183:                              ;   in Loop: Header=BB2_108 Depth=3
	v_mov_b32_e32 v27, 0
	v_mov_b32_e32 v20, 0
	s_and_saveexec_b64 s[74:75], vcc
	s_cbranch_execz .LBB2_189
; %bb.184:                              ;   in Loop: Header=BB2_108 Depth=3
	v_cmp_ne_u16_e32 vcc, s38, v17
	v_bfrev_b32_e32 v20, 1
	s_and_saveexec_b64 s[76:77], vcc
	s_cbranch_execz .LBB2_188
; %bb.185:                              ;   in Loop: Header=BB2_108 Depth=3
	v_and_b32_e32 v28, 0x7f, v17
	v_cmp_ne_u32_e32 vcc, s39, v28
	v_mov_b32_e32 v20, 0x7f800001
	s_and_saveexec_b64 s[78:79], vcc
	s_cbranch_execz .LBB2_187
; %bb.186:                              ;   in Loop: Header=BB2_108 Depth=3
	v_and_b32_e32 v20, 7, v17
	v_lshrrev_b32_e32 v56, 3, v28
	v_cmp_gt_u32_e32 vcc, 8, v28
	v_ffbh_u32_e32 v28, v20
	v_min_u32_e32 v28, 32, v28
	v_subrev_u32_e32 v42, 28, v28
	v_lshlrev_b64 v[42:43], v42, v[17:18]
	v_sub_u32_e32 v17, 29, v28
	v_and_b32_e32 v28, 7, v42
	v_cndmask_b32_e32 v17, v56, v17, vcc
	v_cndmask_b32_e32 v20, v20, v28, vcc
	v_lshlrev_b32_e32 v28, 16, v19
	v_lshlrev_b32_e32 v20, 20, v20
	v_and_b32_e32 v28, 0x80000000, v28
	v_lshl_add_u32 v17, v17, 23, v26
	v_or3_b32 v20, v28, v17, v20
.LBB2_187:                              ;   in Loop: Header=BB2_108 Depth=3
	s_or_b64 exec, exec, s[78:79]
.LBB2_188:                              ;   in Loop: Header=BB2_108 Depth=3
	s_or_b64 exec, exec, s[76:77]
.LBB2_189:                              ;   in Loop: Header=BB2_108 Depth=3
	s_or_b64 exec, exec, s[74:75]
	v_cmp_ne_u16_e32 vcc, 0, v0
	s_and_saveexec_b64 s[74:75], vcc
	s_cbranch_execz .LBB2_195
; %bb.190:                              ;   in Loop: Header=BB2_108 Depth=3
	v_cmp_ne_u16_e32 vcc, s38, v0
	v_bfrev_b32_e32 v27, 1
	s_and_saveexec_b64 s[76:77], vcc
	s_cbranch_execz .LBB2_194
; %bb.191:                              ;   in Loop: Header=BB2_108 Depth=3
	v_and_b32_e32 v17, 0x7f, v0
	v_cmp_ne_u32_e32 vcc, s39, v17
	v_mov_b32_e32 v27, 0x7f800001
	s_and_saveexec_b64 s[78:79], vcc
	s_cbranch_execz .LBB2_193
; %bb.192:                              ;   in Loop: Header=BB2_108 Depth=3
	v_and_b32_e32 v42, 7, v0
	v_lshrrev_b32_e32 v43, 3, v17
	v_cmp_gt_u32_e32 vcc, 8, v17
	v_ffbh_u32_e32 v17, v42
	v_min_u32_e32 v17, 32, v17
	v_subrev_u32_e32 v27, 28, v17
	v_lshlrev_b64 v[27:28], v27, v[0:1]
	v_sub_u32_e32 v0, 29, v17
	v_and_b32_e32 v17, 7, v27
	v_cndmask_b32_e32 v0, v43, v0, vcc
	v_cndmask_b32_e32 v17, v42, v17, vcc
	v_lshlrev_b32_e32 v27, 16, v40
	v_lshlrev_b32_e32 v17, 20, v17
	v_and_b32_e32 v27, 0x80000000, v27
	v_lshl_add_u32 v0, v0, 23, v26
	v_or3_b32 v27, v27, v0, v17
.LBB2_193:                              ;   in Loop: Header=BB2_108 Depth=3
	s_or_b64 exec, exec, s[78:79]
.LBB2_194:                              ;   in Loop: Header=BB2_108 Depth=3
	s_or_b64 exec, exec, s[76:77]
.LBB2_195:                              ;   in Loop: Header=BB2_108 Depth=3
	s_or_b64 exec, exec, s[74:75]
	v_max_f32_e32 v0, v27, v27
	v_max_f32_e32 v17, v20, v20
	v_min_f32_e32 v20, v17, v0
.LBB2_196:                              ;   in Loop: Header=BB2_108 Depth=3
	s_or_b64 exec, exec, s[20:21]
	v_and_b32_e32 v27, 0x7f800000, v20
	v_mov_b32_e32 v28, v41
	v_cmp_ne_u64_e32 vcc, s[56:57], v[27:28]
                                        ; implicit-def: $vgpr59
	s_and_saveexec_b64 s[20:21], vcc
	s_xor_b64 s[74:75], exec, s[20:21]
	s_cbranch_execz .LBB2_210
; %bb.197:                              ;   in Loop: Header=BB2_108 Depth=3
	v_and_b32_e32 v27, 0x7fffffff, v20
	v_mov_b32_e32 v28, v41
	v_cmp_gt_u64_e32 vcc, s[58:59], v[27:28]
	v_and_b32_sdwa v0, v20, s38 dst_sel:DWORD dst_unused:UNUSED_PAD src0_sel:BYTE_3 src1_sel:DWORD
                                        ; implicit-def: $vgpr59
	s_and_saveexec_b64 s[20:21], vcc
	s_xor_b64 s[76:77], exec, s[20:21]
	s_cbranch_execz .LBB2_207
; %bb.198:                              ;   in Loop: Header=BB2_108 Depth=3
	v_mov_b32_e32 v59, 0
	v_cmp_ne_u32_e32 vcc, 0, v20
	s_and_saveexec_b64 s[78:79], vcc
	s_cbranch_execz .LBB2_206
; %bb.199:                              ;   in Loop: Header=BB2_108 Depth=3
	v_bfe_u32 v17, v20, 23, 8
	v_and_b32_e32 v27, 0x7fffff, v20
	v_cmp_gt_u32_e64 s[20:21], s48, v17
	v_sub_u32_e32 v20, 0x79, v17
	v_cmp_eq_u32_e32 vcc, 0, v17
	v_cndmask_b32_e64 v20, 0, v20, s[20:21]
	v_cndmask_b32_e32 v20, v20, v7, vcc
	v_add_u32_e32 v42, 20, v20
	v_or_b32_e32 v28, 0x800000, v27
	v_lshlrev_b64 v[42:43], v42, -1
	v_cndmask_b32_e32 v27, v28, v27, vcc
	v_mov_b32_e32 v28, v41
	v_add_u32_e32 v56, 19, v20
	v_bfi_b32 v42, v42, 0, v27
	v_lshlrev_b64 v[56:57], v56, 1
	v_lshrrev_b64 v[27:28], v20, v[27:28]
	v_bfi_b32 v43, v43, 0, 0
	v_cmp_eq_u64_e64 s[20:21], v[42:43], v[56:57]
	v_mov_b32_e32 v43, v28
	v_mov_b32_e32 v42, v27
	s_and_saveexec_b64 s[88:89], s[20:21]
; %bb.200:                              ;   in Loop: Header=BB2_108 Depth=3
	v_bfe_u32 v28, v27, 20, 1
	v_add_co_u32_e64 v28, s[20:21], v27, v28
	v_add_co_u32_e64 v42, s[20:21], -1, v28
; %bb.201:                              ;   in Loop: Header=BB2_108 Depth=3
	s_or_b64 exec, exec, s[88:89]
	v_add_u32_e32 v17, 0xffffff81, v17
	v_cndmask_b32_e32 v17, v17, v8, vcc
	v_lshrrev_b32_e32 v28, 23, v27
	v_add3_u32 v43, v20, v17, v28
	v_add_u32_e32 v20, 6, v43
	v_and_b32_e32 v17, 0xfffff, v42
	v_add_u32_e32 v27, v17, v27
	v_mov_b32_e32 v28, v41
	v_cmp_ne_u32_e32 vcc, 0, v20
                                        ; implicit-def: $vgpr17
	s_and_saveexec_b64 s[20:21], vcc
	s_xor_b64 s[20:21], exec, s[20:21]
; %bb.202:                              ;   in Loop: Header=BB2_108 Depth=3
	v_cmp_lt_u64_e32 vcc, s[60:61], v[27:28]
	v_add_u32_e32 v17, 7, v43
	v_cndmask_b32_e32 v17, v20, v17, vcc
	v_cndmask_b32_e64 v20, 0, 1, vcc
	v_lshrrev_b64 v[27:28], v20, v[27:28]
; %bb.203:                              ;   in Loop: Header=BB2_108 Depth=3
	s_andn2_saveexec_b64 s[20:21], s[20:21]
; %bb.204:                              ;   in Loop: Header=BB2_108 Depth=3
	v_bfe_u32 v17, v27, 23, 1
; %bb.205:                              ;   in Loop: Header=BB2_108 Depth=3
	s_or_b64 exec, exec, s[20:21]
	v_lshrrev_b64 v[27:28], 20, v[27:28]
	v_cmp_gt_i32_e32 vcc, 16, v17
	v_cndmask_b32_e32 v28, 0, v28, vcc
	v_cndmask_b32_e32 v27, 7, v27, vcc
	v_cmp_eq_u32_e32 vcc, 0, v17
	v_min_i32_e32 v17, 15, v17
	v_cmp_eq_u64_e64 s[20:21], 0, v[27:28]
	v_lshlrev_b32_e32 v17, 3, v17
	v_and_b32_e32 v17, 0xf8, v17
	v_and_or_b32 v17, v27, 7, v17
	s_and_b64 s[20:21], vcc, s[20:21]
	v_cndmask_b32_e64 v17, v17, 0, s[20:21]
	v_or_b32_e32 v59, v17, v0
.LBB2_206:                              ;   in Loop: Header=BB2_108 Depth=3
	s_or_b64 exec, exec, s[78:79]
                                        ; implicit-def: $vgpr0
.LBB2_207:                              ;   in Loop: Header=BB2_108 Depth=3
	s_andn2_saveexec_b64 s[20:21], s[76:77]
; %bb.208:                              ;   in Loop: Header=BB2_108 Depth=3
	v_or_b32_e32 v59, 0x7e, v0
; %bb.209:                              ;   in Loop: Header=BB2_108 Depth=3
	s_or_b64 exec, exec, s[20:21]
                                        ; implicit-def: $vgpr20
.LBB2_210:                              ;   in Loop: Header=BB2_108 Depth=3
	s_andn2_saveexec_b64 s[20:21], s[74:75]
; %bb.211:                              ;   in Loop: Header=BB2_108 Depth=3
	v_or_b32_sdwa v59, v20, s39 dst_sel:DWORD dst_unused:UNUSED_PAD src0_sel:BYTE_3 src1_sel:DWORD
; %bb.212:                              ;   in Loop: Header=BB2_108 Depth=3
	s_or_b64 exec, exec, s[20:21]
	v_lshrrev_b32_e32 v17, 16, v19
	v_lshrrev_b32_e32 v0, 16, v40
	v_cmp_ne_u16_sdwa s[20:21], v17, v41 src0_sel:BYTE_0 src1_sel:DWORD
                                        ; implicit-def: $vgpr20
	s_and_saveexec_b64 s[74:75], s[14:15]
	s_xor_b64 s[74:75], exec, s[74:75]
	s_cbranch_execz .LBB2_226
; %bb.213:                              ;   in Loop: Header=BB2_108 Depth=3
	v_mov_b32_e32 v27, 0
	v_mov_b32_e32 v20, 0
	s_and_saveexec_b64 s[76:77], s[20:21]
	s_cbranch_execz .LBB2_219
; %bb.214:                              ;   in Loop: Header=BB2_108 Depth=3
	v_cmp_ne_u16_sdwa s[88:89], v17, s38 src0_sel:BYTE_0 src1_sel:DWORD
	v_bfrev_b32_e32 v20, 1
	s_and_saveexec_b64 s[78:79], s[88:89]
	s_cbranch_execz .LBB2_218
; %bb.215:                              ;   in Loop: Header=BB2_108 Depth=3
	v_bfe_u32 v28, v19, 16, 7
	v_cmp_ne_u32_e32 vcc, s39, v28
	v_mov_b32_e32 v20, 0x7f800001
	s_and_saveexec_b64 s[88:89], vcc
	s_cbranch_execz .LBB2_217
; %bb.216:                              ;   in Loop: Header=BB2_108 Depth=3
	v_and_b32_e32 v20, 7, v17
	v_lshrrev_b32_e32 v56, 3, v28
	v_cmp_gt_u32_e32 vcc, 8, v28
	v_ffbh_u32_e32 v28, v20
	v_min_u32_e32 v28, 32, v28
	v_subrev_u32_e32 v42, 28, v28
	v_lshlrev_b64 v[42:43], v42, v[17:18]
	v_sub_u32_e32 v28, 29, v28
	v_and_b32_e32 v42, 7, v42
	v_cndmask_b32_e32 v28, v56, v28, vcc
	v_cndmask_b32_e32 v20, v20, v42, vcc
	v_lshlrev_b32_e32 v17, 24, v17
	v_lshlrev_b32_e32 v20, 20, v20
	v_and_b32_e32 v17, 0x80000000, v17
	v_lshl_add_u32 v28, v28, 23, v26
	v_or3_b32 v20, v17, v28, v20
.LBB2_217:                              ;   in Loop: Header=BB2_108 Depth=3
	s_or_b64 exec, exec, s[88:89]
.LBB2_218:                              ;   in Loop: Header=BB2_108 Depth=3
	s_or_b64 exec, exec, s[78:79]
.LBB2_219:                              ;   in Loop: Header=BB2_108 Depth=3
	s_or_b64 exec, exec, s[76:77]
	v_and_b32_sdwa v17, v40, s37 dst_sel:DWORD dst_unused:UNUSED_PAD src0_sel:WORD_1 src1_sel:DWORD
	v_cmp_ne_u16_e32 vcc, 0, v17
	s_and_saveexec_b64 s[76:77], vcc
	s_cbranch_execz .LBB2_225
; %bb.220:                              ;   in Loop: Header=BB2_108 Depth=3
	v_cmp_ne_u16_e32 vcc, s38, v17
	v_bfrev_b32_e32 v27, 1
	s_and_saveexec_b64 s[78:79], vcc
	s_cbranch_execz .LBB2_224
; %bb.221:                              ;   in Loop: Header=BB2_108 Depth=3
	v_bfe_u32 v17, v40, 16, 7
	v_cmp_ne_u32_e32 vcc, s39, v17
	v_mov_b32_e32 v27, 0x7f800001
	s_and_saveexec_b64 s[88:89], vcc
	s_cbranch_execz .LBB2_223
; %bb.222:                              ;   in Loop: Header=BB2_108 Depth=3
	v_and_b32_e32 v42, 7, v0
	v_lshrrev_b32_e32 v43, 3, v17
	v_cmp_gt_u32_e32 vcc, 8, v17
	v_ffbh_u32_e32 v17, v42
	v_min_u32_e32 v17, 32, v17
	v_subrev_u32_e32 v27, 28, v17
	v_lshlrev_b64 v[27:28], v27, v[0:1]
	v_sub_u32_e32 v0, 29, v17
	v_and_b32_e32 v17, 7, v27
	v_cndmask_b32_e32 v0, v43, v0, vcc
	v_cndmask_b32_e32 v17, v42, v17, vcc
	v_lshlrev_b32_sdwa v27, v54, v40 dst_sel:DWORD dst_unused:UNUSED_PAD src0_sel:DWORD src1_sel:WORD_1
	v_lshlrev_b32_e32 v17, 20, v17
	v_and_b32_e32 v27, 0x80000000, v27
	v_lshl_add_u32 v0, v0, 23, v26
	v_or3_b32 v27, v27, v0, v17
.LBB2_223:                              ;   in Loop: Header=BB2_108 Depth=3
	s_or_b64 exec, exec, s[88:89]
.LBB2_224:                              ;   in Loop: Header=BB2_108 Depth=3
	s_or_b64 exec, exec, s[78:79]
.LBB2_225:                              ;   in Loop: Header=BB2_108 Depth=3
	s_or_b64 exec, exec, s[76:77]
	v_max_f32_e32 v0, v27, v27
	v_max_f32_e32 v17, v20, v20
	;; [unrolled: 1-line block ×3, first 2 shown]
                                        ; implicit-def: $vgpr17
                                        ; implicit-def: $vgpr0
.LBB2_226:                              ;   in Loop: Header=BB2_108 Depth=3
	s_andn2_saveexec_b64 s[74:75], s[74:75]
	s_cbranch_execz .LBB2_240
; %bb.227:                              ;   in Loop: Header=BB2_108 Depth=3
	v_mov_b32_e32 v27, 0
	v_mov_b32_e32 v20, 0
	s_and_saveexec_b64 s[76:77], s[20:21]
	s_cbranch_execz .LBB2_233
; %bb.228:                              ;   in Loop: Header=BB2_108 Depth=3
	v_cmp_ne_u16_sdwa s[78:79], v17, s38 src0_sel:BYTE_0 src1_sel:DWORD
	v_bfrev_b32_e32 v20, 1
	s_and_saveexec_b64 s[20:21], s[78:79]
	s_cbranch_execz .LBB2_232
; %bb.229:                              ;   in Loop: Header=BB2_108 Depth=3
	v_bfe_u32 v28, v19, 16, 7
	v_cmp_ne_u32_e32 vcc, s39, v28
	v_mov_b32_e32 v20, 0x7f800001
	s_and_saveexec_b64 s[78:79], vcc
	s_cbranch_execz .LBB2_231
; %bb.230:                              ;   in Loop: Header=BB2_108 Depth=3
	v_and_b32_e32 v20, 7, v17
	v_lshrrev_b32_e32 v56, 3, v28
	v_cmp_gt_u32_e32 vcc, 8, v28
	v_ffbh_u32_e32 v28, v20
	v_min_u32_e32 v28, 32, v28
	v_subrev_u32_e32 v42, 28, v28
	v_lshlrev_b64 v[42:43], v42, v[17:18]
	v_sub_u32_e32 v28, 29, v28
	v_and_b32_e32 v42, 7, v42
	v_cndmask_b32_e32 v28, v56, v28, vcc
	v_cndmask_b32_e32 v20, v20, v42, vcc
	v_lshlrev_b32_e32 v17, 24, v17
	v_lshlrev_b32_e32 v20, 20, v20
	v_and_b32_e32 v17, 0x80000000, v17
	v_lshl_add_u32 v28, v28, 23, v26
	v_or3_b32 v20, v17, v28, v20
.LBB2_231:                              ;   in Loop: Header=BB2_108 Depth=3
	s_or_b64 exec, exec, s[78:79]
.LBB2_232:                              ;   in Loop: Header=BB2_108 Depth=3
	s_or_b64 exec, exec, s[20:21]
.LBB2_233:                              ;   in Loop: Header=BB2_108 Depth=3
	s_or_b64 exec, exec, s[76:77]
	v_and_b32_sdwa v17, v40, s37 dst_sel:DWORD dst_unused:UNUSED_PAD src0_sel:WORD_1 src1_sel:DWORD
	v_cmp_ne_u16_e32 vcc, 0, v17
	s_and_saveexec_b64 s[20:21], vcc
	s_cbranch_execz .LBB2_239
; %bb.234:                              ;   in Loop: Header=BB2_108 Depth=3
	v_cmp_ne_u16_e32 vcc, s38, v17
	v_bfrev_b32_e32 v27, 1
	s_and_saveexec_b64 s[76:77], vcc
	s_cbranch_execz .LBB2_238
; %bb.235:                              ;   in Loop: Header=BB2_108 Depth=3
	v_bfe_u32 v17, v40, 16, 7
	v_cmp_ne_u32_e32 vcc, s39, v17
	v_mov_b32_e32 v27, 0x7f800001
	s_and_saveexec_b64 s[78:79], vcc
	s_cbranch_execz .LBB2_237
; %bb.236:                              ;   in Loop: Header=BB2_108 Depth=3
	v_and_b32_e32 v42, 7, v0
	v_lshrrev_b32_e32 v43, 3, v17
	v_cmp_gt_u32_e32 vcc, 8, v17
	v_ffbh_u32_e32 v17, v42
	v_min_u32_e32 v17, 32, v17
	v_subrev_u32_e32 v27, 28, v17
	v_lshlrev_b64 v[27:28], v27, v[0:1]
	v_sub_u32_e32 v0, 29, v17
	v_and_b32_e32 v17, 7, v27
	v_cndmask_b32_e32 v0, v43, v0, vcc
	v_cndmask_b32_e32 v17, v42, v17, vcc
	v_lshlrev_b32_sdwa v27, v54, v40 dst_sel:DWORD dst_unused:UNUSED_PAD src0_sel:DWORD src1_sel:WORD_1
	v_lshlrev_b32_e32 v17, 20, v17
	v_and_b32_e32 v27, 0x80000000, v27
	v_lshl_add_u32 v0, v0, 23, v26
	v_or3_b32 v27, v27, v0, v17
.LBB2_237:                              ;   in Loop: Header=BB2_108 Depth=3
	s_or_b64 exec, exec, s[78:79]
.LBB2_238:                              ;   in Loop: Header=BB2_108 Depth=3
	s_or_b64 exec, exec, s[76:77]
.LBB2_239:                              ;   in Loop: Header=BB2_108 Depth=3
	s_or_b64 exec, exec, s[20:21]
	v_max_f32_e32 v0, v27, v27
	v_max_f32_e32 v17, v20, v20
	v_min_f32_e32 v20, v17, v0
.LBB2_240:                              ;   in Loop: Header=BB2_108 Depth=3
	s_or_b64 exec, exec, s[74:75]
	v_and_b32_e32 v27, 0x7f800000, v20
	v_mov_b32_e32 v28, v41
	v_cmp_ne_u64_e32 vcc, s[56:57], v[27:28]
                                        ; implicit-def: $vgpr42
	s_and_saveexec_b64 s[20:21], vcc
	s_xor_b64 s[74:75], exec, s[20:21]
	s_cbranch_execz .LBB2_254
; %bb.241:                              ;   in Loop: Header=BB2_108 Depth=3
	v_and_b32_e32 v27, 0x7fffffff, v20
	v_mov_b32_e32 v28, v41
	v_cmp_gt_u64_e32 vcc, s[58:59], v[27:28]
	v_and_b32_sdwa v0, v20, s38 dst_sel:DWORD dst_unused:UNUSED_PAD src0_sel:BYTE_3 src1_sel:DWORD
                                        ; implicit-def: $vgpr42
	s_and_saveexec_b64 s[20:21], vcc
	s_xor_b64 s[76:77], exec, s[20:21]
	s_cbranch_execz .LBB2_251
; %bb.242:                              ;   in Loop: Header=BB2_108 Depth=3
	v_mov_b32_e32 v42, 0
	v_cmp_ne_u32_e32 vcc, 0, v20
	s_and_saveexec_b64 s[78:79], vcc
	s_cbranch_execz .LBB2_250
; %bb.243:                              ;   in Loop: Header=BB2_108 Depth=3
	v_bfe_u32 v17, v20, 23, 8
	v_and_b32_e32 v27, 0x7fffff, v20
	v_cmp_gt_u32_e64 s[20:21], s48, v17
	v_sub_u32_e32 v20, 0x79, v17
	v_cmp_eq_u32_e32 vcc, 0, v17
	v_cndmask_b32_e64 v20, 0, v20, s[20:21]
	v_cndmask_b32_e32 v20, v20, v7, vcc
	v_add_u32_e32 v42, 20, v20
	v_or_b32_e32 v28, 0x800000, v27
	v_lshlrev_b64 v[42:43], v42, -1
	v_cndmask_b32_e32 v27, v28, v27, vcc
	v_mov_b32_e32 v28, v41
	v_add_u32_e32 v56, 19, v20
	v_bfi_b32 v42, v42, 0, v27
	v_lshlrev_b64 v[56:57], v56, 1
	v_lshrrev_b64 v[27:28], v20, v[27:28]
	v_bfi_b32 v43, v43, 0, 0
	v_cmp_eq_u64_e64 s[20:21], v[42:43], v[56:57]
	v_mov_b32_e32 v43, v28
	v_mov_b32_e32 v42, v27
	s_and_saveexec_b64 s[88:89], s[20:21]
; %bb.244:                              ;   in Loop: Header=BB2_108 Depth=3
	v_bfe_u32 v28, v27, 20, 1
	v_add_co_u32_e64 v28, s[20:21], v27, v28
	v_add_co_u32_e64 v42, s[20:21], -1, v28
; %bb.245:                              ;   in Loop: Header=BB2_108 Depth=3
	s_or_b64 exec, exec, s[88:89]
	v_add_u32_e32 v17, 0xffffff81, v17
	v_cndmask_b32_e32 v17, v17, v8, vcc
	v_lshrrev_b32_e32 v28, 23, v27
	v_add3_u32 v43, v20, v17, v28
	v_add_u32_e32 v20, 6, v43
	v_and_b32_e32 v17, 0xfffff, v42
	v_add_u32_e32 v27, v17, v27
	v_mov_b32_e32 v28, v41
	v_cmp_ne_u32_e32 vcc, 0, v20
                                        ; implicit-def: $vgpr17
	s_and_saveexec_b64 s[20:21], vcc
	s_xor_b64 s[20:21], exec, s[20:21]
; %bb.246:                              ;   in Loop: Header=BB2_108 Depth=3
	v_cmp_lt_u64_e32 vcc, s[60:61], v[27:28]
	v_add_u32_e32 v17, 7, v43
	v_cndmask_b32_e32 v17, v20, v17, vcc
	v_cndmask_b32_e64 v20, 0, 1, vcc
	v_lshrrev_b64 v[27:28], v20, v[27:28]
; %bb.247:                              ;   in Loop: Header=BB2_108 Depth=3
	s_andn2_saveexec_b64 s[20:21], s[20:21]
; %bb.248:                              ;   in Loop: Header=BB2_108 Depth=3
	v_bfe_u32 v17, v27, 23, 1
; %bb.249:                              ;   in Loop: Header=BB2_108 Depth=3
	s_or_b64 exec, exec, s[20:21]
	v_lshrrev_b64 v[27:28], 20, v[27:28]
	v_cmp_gt_i32_e32 vcc, 16, v17
	v_cndmask_b32_e32 v28, 0, v28, vcc
	v_cndmask_b32_e32 v27, 7, v27, vcc
	v_cmp_eq_u32_e32 vcc, 0, v17
	v_min_i32_e32 v17, 15, v17
	v_cmp_eq_u64_e64 s[20:21], 0, v[27:28]
	v_lshlrev_b32_e32 v17, 3, v17
	v_and_b32_e32 v17, 0xf8, v17
	v_and_or_b32 v17, v27, 7, v17
	s_and_b64 s[20:21], vcc, s[20:21]
	v_cndmask_b32_e64 v17, v17, 0, s[20:21]
	v_or_b32_e32 v42, v17, v0
.LBB2_250:                              ;   in Loop: Header=BB2_108 Depth=3
	s_or_b64 exec, exec, s[78:79]
                                        ; implicit-def: $vgpr0
.LBB2_251:                              ;   in Loop: Header=BB2_108 Depth=3
	s_andn2_saveexec_b64 s[20:21], s[76:77]
; %bb.252:                              ;   in Loop: Header=BB2_108 Depth=3
	v_or_b32_e32 v42, 0x7e, v0
; %bb.253:                              ;   in Loop: Header=BB2_108 Depth=3
	s_or_b64 exec, exec, s[20:21]
                                        ; implicit-def: $vgpr20
.LBB2_254:                              ;   in Loop: Header=BB2_108 Depth=3
	s_andn2_saveexec_b64 s[20:21], s[74:75]
; %bb.255:                              ;   in Loop: Header=BB2_108 Depth=3
	v_or_b32_sdwa v42, v20, s39 dst_sel:DWORD dst_unused:UNUSED_PAD src0_sel:BYTE_3 src1_sel:DWORD
; %bb.256:                              ;   in Loop: Header=BB2_108 Depth=3
	s_or_b64 exec, exec, s[20:21]
	v_lshrrev_b32_e32 v17, 24, v19
	v_lshrrev_b32_e32 v0, 24, v40
	v_cmp_lt_u32_e32 vcc, s49, v19
                                        ; implicit-def: $vgpr20
	s_and_saveexec_b64 s[20:21], s[14:15]
	s_xor_b64 s[74:75], exec, s[20:21]
	s_cbranch_execz .LBB2_270
; %bb.257:                              ;   in Loop: Header=BB2_108 Depth=3
	v_mov_b32_e32 v27, 0
	v_mov_b32_e32 v20, 0
	s_and_saveexec_b64 s[76:77], vcc
	s_cbranch_execz .LBB2_263
; %bb.258:                              ;   in Loop: Header=BB2_108 Depth=3
	v_cmp_ne_u32_e64 s[20:21], s38, v17
	v_bfrev_b32_e32 v20, 1
	s_and_saveexec_b64 s[78:79], s[20:21]
	s_cbranch_execz .LBB2_262
; %bb.259:                              ;   in Loop: Header=BB2_108 Depth=3
	v_bfe_u32 v19, v19, 24, 7
	v_cmp_ne_u32_e64 s[20:21], s39, v19
	v_mov_b32_e32 v20, 0x7f800001
	s_and_saveexec_b64 s[88:89], s[20:21]
	s_cbranch_execz .LBB2_261
; %bb.260:                              ;   in Loop: Header=BB2_108 Depth=3
	v_and_b32_e32 v28, 7, v17
	v_lshrrev_b32_e32 v43, 3, v19
	v_cmp_gt_u32_e64 s[20:21], 8, v19
	v_ffbh_u32_e32 v19, v28
	v_min_u32_e32 v56, 32, v19
	v_subrev_u32_e32 v19, 28, v56
	v_lshlrev_b64 v[19:20], v19, v[17:18]
	v_sub_u32_e32 v20, 29, v56
	v_and_b32_e32 v19, 7, v19
	v_cndmask_b32_e64 v20, v43, v20, s[20:21]
	v_cndmask_b32_e64 v19, v28, v19, s[20:21]
	v_lshlrev_b32_e32 v17, 24, v17
	v_lshlrev_b32_e32 v19, 20, v19
	v_and_b32_e32 v17, 0x80000000, v17
	v_lshl_add_u32 v20, v20, 23, v26
	v_or3_b32 v20, v17, v20, v19
.LBB2_261:                              ;   in Loop: Header=BB2_108 Depth=3
	s_or_b64 exec, exec, s[88:89]
.LBB2_262:                              ;   in Loop: Header=BB2_108 Depth=3
	s_or_b64 exec, exec, s[78:79]
.LBB2_263:                              ;   in Loop: Header=BB2_108 Depth=3
	s_or_b64 exec, exec, s[76:77]
	v_cmp_lt_u32_e64 s[20:21], s49, v40
	s_and_saveexec_b64 s[76:77], s[20:21]
	s_cbranch_execz .LBB2_269
; %bb.264:                              ;   in Loop: Header=BB2_108 Depth=3
	v_cmp_ne_u32_sdwa s[20:21], v40, s38 src0_sel:BYTE_3 src1_sel:DWORD
	v_bfrev_b32_e32 v27, 1
	s_and_saveexec_b64 s[78:79], s[20:21]
	s_cbranch_execz .LBB2_268
; %bb.265:                              ;   in Loop: Header=BB2_108 Depth=3
	v_bfe_u32 v17, v40, 24, 7
	v_cmp_ne_u32_e64 s[20:21], s39, v17
	v_mov_b32_e32 v27, 0x7f800001
	s_and_saveexec_b64 s[88:89], s[20:21]
	s_cbranch_execz .LBB2_267
; %bb.266:                              ;   in Loop: Header=BB2_108 Depth=3
	v_and_b32_e32 v19, 7, v0
	v_lshrrev_b32_e32 v43, 3, v17
	v_cmp_gt_u32_e64 s[20:21], 8, v17
	v_ffbh_u32_e32 v17, v19
	v_min_u32_e32 v17, 32, v17
	v_subrev_u32_e32 v27, 28, v17
	v_lshlrev_b64 v[27:28], v27, v[0:1]
	v_sub_u32_e32 v0, 29, v17
	v_and_b32_e32 v17, 7, v27
	v_cndmask_b32_e64 v0, v43, v0, s[20:21]
	v_cndmask_b32_e64 v17, v19, v17, s[20:21]
	v_lshlrev_b32_sdwa v19, v54, v40 dst_sel:DWORD dst_unused:UNUSED_PAD src0_sel:DWORD src1_sel:BYTE_3
	v_lshlrev_b32_e32 v17, 20, v17
	v_and_b32_e32 v19, 0x80000000, v19
	v_lshl_add_u32 v0, v0, 23, v26
	v_or3_b32 v27, v19, v0, v17
.LBB2_267:                              ;   in Loop: Header=BB2_108 Depth=3
	s_or_b64 exec, exec, s[88:89]
.LBB2_268:                              ;   in Loop: Header=BB2_108 Depth=3
	s_or_b64 exec, exec, s[78:79]
.LBB2_269:                              ;   in Loop: Header=BB2_108 Depth=3
	s_or_b64 exec, exec, s[76:77]
	v_max_f32_e32 v0, v27, v27
	v_max_f32_e32 v17, v20, v20
	;; [unrolled: 1-line block ×3, first 2 shown]
                                        ; implicit-def: $vgpr17
                                        ; implicit-def: $vgpr0
.LBB2_270:                              ;   in Loop: Header=BB2_108 Depth=3
	s_andn2_saveexec_b64 s[20:21], s[74:75]
	s_cbranch_execz .LBB2_284
; %bb.271:                              ;   in Loop: Header=BB2_108 Depth=3
	v_mov_b32_e32 v27, 0
	v_mov_b32_e32 v20, 0
	s_and_saveexec_b64 s[74:75], vcc
	s_cbranch_execz .LBB2_277
; %bb.272:                              ;   in Loop: Header=BB2_108 Depth=3
	v_cmp_ne_u32_e32 vcc, s38, v17
	v_bfrev_b32_e32 v20, 1
	s_and_saveexec_b64 s[76:77], vcc
	s_cbranch_execz .LBB2_276
; %bb.273:                              ;   in Loop: Header=BB2_108 Depth=3
	v_bfe_u32 v19, v19, 24, 7
	v_cmp_ne_u32_e32 vcc, s39, v19
	v_mov_b32_e32 v20, 0x7f800001
	s_and_saveexec_b64 s[78:79], vcc
	s_cbranch_execz .LBB2_275
; %bb.274:                              ;   in Loop: Header=BB2_108 Depth=3
	v_and_b32_e32 v28, 7, v17
	v_lshrrev_b32_e32 v43, 3, v19
	v_cmp_gt_u32_e32 vcc, 8, v19
	v_ffbh_u32_e32 v19, v28
	v_min_u32_e32 v56, 32, v19
	v_subrev_u32_e32 v19, 28, v56
	v_lshlrev_b64 v[19:20], v19, v[17:18]
	v_sub_u32_e32 v20, 29, v56
	v_and_b32_e32 v19, 7, v19
	v_cndmask_b32_e32 v20, v43, v20, vcc
	v_cndmask_b32_e32 v19, v28, v19, vcc
	v_lshlrev_b32_e32 v17, 24, v17
	v_lshlrev_b32_e32 v19, 20, v19
	v_and_b32_e32 v17, 0x80000000, v17
	v_lshl_add_u32 v20, v20, 23, v26
	v_or3_b32 v20, v17, v20, v19
.LBB2_275:                              ;   in Loop: Header=BB2_108 Depth=3
	s_or_b64 exec, exec, s[78:79]
.LBB2_276:                              ;   in Loop: Header=BB2_108 Depth=3
	s_or_b64 exec, exec, s[76:77]
.LBB2_277:                              ;   in Loop: Header=BB2_108 Depth=3
	s_or_b64 exec, exec, s[74:75]
	v_cmp_lt_u32_e32 vcc, s49, v40
	s_and_saveexec_b64 s[74:75], vcc
	s_cbranch_execz .LBB2_283
; %bb.278:                              ;   in Loop: Header=BB2_108 Depth=3
	v_cmp_ne_u32_sdwa s[78:79], v40, s38 src0_sel:BYTE_3 src1_sel:DWORD
	v_bfrev_b32_e32 v27, 1
	s_and_saveexec_b64 s[76:77], s[78:79]
	s_cbranch_execz .LBB2_282
; %bb.279:                              ;   in Loop: Header=BB2_108 Depth=3
	v_bfe_u32 v17, v40, 24, 7
	v_cmp_ne_u32_e32 vcc, s39, v17
	v_mov_b32_e32 v27, 0x7f800001
	s_and_saveexec_b64 s[78:79], vcc
	s_cbranch_execz .LBB2_281
; %bb.280:                              ;   in Loop: Header=BB2_108 Depth=3
	v_and_b32_e32 v19, 7, v0
	v_lshrrev_b32_e32 v43, 3, v17
	v_cmp_gt_u32_e32 vcc, 8, v17
	v_ffbh_u32_e32 v17, v19
	v_min_u32_e32 v17, 32, v17
	v_subrev_u32_e32 v27, 28, v17
	v_lshlrev_b64 v[27:28], v27, v[0:1]
	v_sub_u32_e32 v0, 29, v17
	v_and_b32_e32 v17, 7, v27
	v_cndmask_b32_e32 v0, v43, v0, vcc
	v_cndmask_b32_e32 v17, v19, v17, vcc
	v_lshlrev_b32_sdwa v19, v54, v40 dst_sel:DWORD dst_unused:UNUSED_PAD src0_sel:DWORD src1_sel:BYTE_3
	v_lshlrev_b32_e32 v17, 20, v17
	v_and_b32_e32 v19, 0x80000000, v19
	v_lshl_add_u32 v0, v0, 23, v26
	v_or3_b32 v27, v19, v0, v17
.LBB2_281:                              ;   in Loop: Header=BB2_108 Depth=3
	s_or_b64 exec, exec, s[78:79]
.LBB2_282:                              ;   in Loop: Header=BB2_108 Depth=3
	s_or_b64 exec, exec, s[76:77]
.LBB2_283:                              ;   in Loop: Header=BB2_108 Depth=3
	s_or_b64 exec, exec, s[74:75]
	v_max_f32_e32 v0, v27, v27
	v_max_f32_e32 v17, v20, v20
	v_min_f32_e32 v20, v17, v0
.LBB2_284:                              ;   in Loop: Header=BB2_108 Depth=3
	s_or_b64 exec, exec, s[20:21]
	v_and_b32_e32 v40, 0x7f800000, v20
	v_cmp_ne_u64_e32 vcc, s[56:57], v[40:41]
                                        ; implicit-def: $vgpr43
	s_and_saveexec_b64 s[20:21], vcc
	s_xor_b64 s[74:75], exec, s[20:21]
	s_cbranch_execz .LBB2_298
; %bb.285:                              ;   in Loop: Header=BB2_108 Depth=3
	v_and_b32_e32 v40, 0x7fffffff, v20
	v_cmp_gt_u64_e32 vcc, s[58:59], v[40:41]
	v_and_b32_sdwa v0, v20, s38 dst_sel:DWORD dst_unused:UNUSED_PAD src0_sel:BYTE_3 src1_sel:DWORD
                                        ; implicit-def: $vgpr43
	s_and_saveexec_b64 s[20:21], vcc
	s_xor_b64 s[76:77], exec, s[20:21]
	s_cbranch_execz .LBB2_295
; %bb.286:                              ;   in Loop: Header=BB2_108 Depth=3
	v_mov_b32_e32 v43, 0
	v_cmp_ne_u32_e32 vcc, 0, v20
	s_and_saveexec_b64 s[78:79], vcc
	s_cbranch_execz .LBB2_294
; %bb.287:                              ;   in Loop: Header=BB2_108 Depth=3
	v_bfe_u32 v17, v20, 23, 8
	v_and_b32_e32 v19, 0x7fffff, v20
	v_cmp_gt_u32_e64 s[20:21], s48, v17
	v_sub_u32_e32 v20, 0x79, v17
	v_cmp_eq_u32_e32 vcc, 0, v17
	v_cndmask_b32_e64 v20, 0, v20, s[20:21]
	v_or_b32_e32 v27, 0x800000, v19
	v_cndmask_b32_e32 v43, v20, v7, vcc
	v_cndmask_b32_e32 v40, v27, v19, vcc
	v_add_u32_e32 v19, 20, v43
	v_lshlrev_b64 v[19:20], v19, -1
	v_add_u32_e32 v27, 19, v43
	v_lshlrev_b64 v[27:28], v27, 1
	v_bfi_b32 v20, v20, 0, 0
	v_bfi_b32 v19, v19, 0, v40
	v_cmp_eq_u64_e64 s[20:21], v[19:20], v[27:28]
	v_lshrrev_b64 v[19:20], v43, v[40:41]
	v_mov_b32_e32 v28, v20
	v_mov_b32_e32 v27, v19
	s_and_saveexec_b64 s[88:89], s[20:21]
; %bb.288:                              ;   in Loop: Header=BB2_108 Depth=3
	v_bfe_u32 v20, v19, 20, 1
	v_add_co_u32_e64 v20, s[20:21], v19, v20
	v_add_co_u32_e64 v27, s[20:21], -1, v20
; %bb.289:                              ;   in Loop: Header=BB2_108 Depth=3
	s_or_b64 exec, exec, s[88:89]
	v_add_u32_e32 v17, 0xffffff81, v17
	v_cndmask_b32_e32 v17, v17, v8, vcc
	v_lshrrev_b32_e32 v20, 23, v19
	v_add3_u32 v43, v43, v17, v20
	v_add_u32_e32 v28, 6, v43
	v_and_b32_e32 v17, 0xfffff, v27
	v_add_u32_e32 v40, v17, v19
	v_cmp_ne_u32_e32 vcc, 0, v28
                                        ; implicit-def: $vgpr19_vgpr20
                                        ; implicit-def: $vgpr17
	s_and_saveexec_b64 s[20:21], vcc
	s_xor_b64 s[20:21], exec, s[20:21]
; %bb.290:                              ;   in Loop: Header=BB2_108 Depth=3
	v_cmp_lt_u64_e32 vcc, s[60:61], v[40:41]
	v_add_u32_e32 v17, 7, v43
	v_cndmask_b32_e64 v19, 0, 1, vcc
	v_cndmask_b32_e32 v17, v28, v17, vcc
	v_lshrrev_b64 v[19:20], v19, v[40:41]
; %bb.291:                              ;   in Loop: Header=BB2_108 Depth=3
	s_andn2_saveexec_b64 s[20:21], s[20:21]
; %bb.292:                              ;   in Loop: Header=BB2_108 Depth=3
	v_mov_b32_e32 v19, v40
	v_bfe_u32 v17, v40, 23, 1
	v_mov_b32_e32 v20, v41
; %bb.293:                              ;   in Loop: Header=BB2_108 Depth=3
	s_or_b64 exec, exec, s[20:21]
	v_lshrrev_b64 v[19:20], 20, v[19:20]
	v_cmp_gt_i32_e32 vcc, 16, v17
	v_cndmask_b32_e32 v20, 0, v20, vcc
	v_cndmask_b32_e32 v19, 7, v19, vcc
	v_cmp_eq_u32_e32 vcc, 0, v17
	v_min_i32_e32 v17, 15, v17
	v_cmp_eq_u64_e64 s[20:21], 0, v[19:20]
	v_lshlrev_b32_e32 v17, 3, v17
	v_and_b32_e32 v17, 0xf8, v17
	v_and_or_b32 v17, v19, 7, v17
	s_and_b64 s[20:21], vcc, s[20:21]
	v_cndmask_b32_e64 v17, v17, 0, s[20:21]
	v_or_b32_e32 v43, v17, v0
.LBB2_294:                              ;   in Loop: Header=BB2_108 Depth=3
	s_or_b64 exec, exec, s[78:79]
                                        ; implicit-def: $vgpr0
.LBB2_295:                              ;   in Loop: Header=BB2_108 Depth=3
	s_andn2_saveexec_b64 s[20:21], s[76:77]
; %bb.296:                              ;   in Loop: Header=BB2_108 Depth=3
	v_or_b32_e32 v43, 0x7e, v0
; %bb.297:                              ;   in Loop: Header=BB2_108 Depth=3
	s_or_b64 exec, exec, s[20:21]
                                        ; implicit-def: $vgpr20
.LBB2_298:                              ;   in Loop: Header=BB2_108 Depth=3
	s_andn2_saveexec_b64 s[20:21], s[74:75]
; %bb.299:                              ;   in Loop: Header=BB2_108 Depth=3
	v_or_b32_sdwa v43, v20, s39 dst_sel:DWORD dst_unused:UNUSED_PAD src0_sel:BYTE_3 src1_sel:DWORD
; %bb.300:                              ;   in Loop: Header=BB2_108 Depth=3
	s_or_b64 exec, exec, s[20:21]
	v_alignbit_b32 v40, v44, v45, v22
	v_mov_b32_e32 v22, v41
	v_cmp_ne_u16_sdwa s[20:21], v21, v41 src0_sel:BYTE_0 src1_sel:DWORD
                                        ; implicit-def: $vgpr17
	s_and_saveexec_b64 s[74:75], s[14:15]
	s_xor_b64 s[74:75], exec, s[74:75]
	s_cbranch_execz .LBB2_314
; %bb.301:                              ;   in Loop: Header=BB2_108 Depth=3
	v_mov_b32_e32 v17, 0
	v_mov_b32_e32 v0, 0
	s_and_saveexec_b64 s[76:77], s[20:21]
	s_cbranch_execz .LBB2_307
; %bb.302:                              ;   in Loop: Header=BB2_108 Depth=3
	v_cmp_ne_u16_sdwa s[88:89], v21, s38 src0_sel:BYTE_0 src1_sel:DWORD
	v_bfrev_b32_e32 v0, 1
	s_and_saveexec_b64 s[78:79], s[88:89]
	s_cbranch_execz .LBB2_306
; %bb.303:                              ;   in Loop: Header=BB2_108 Depth=3
	v_and_b32_e32 v19, 0x7f, v21
	v_cmp_ne_u32_e32 vcc, s39, v19
	v_mov_b32_e32 v0, 0x7f800001
	s_and_saveexec_b64 s[88:89], vcc
	s_cbranch_execz .LBB2_305
; %bb.304:                              ;   in Loop: Header=BB2_108 Depth=3
	v_and_b32_e32 v0, 7, v21
	v_ffbh_u32_e32 v0, v0
	v_min_u32_e32 v0, 32, v0
	v_lshrrev_b32_e32 v20, 3, v19
	v_cmp_gt_u32_e32 vcc, 8, v19
	v_subrev_u32_e32 v19, 28, v0
	v_sub_u32_e32 v0, 29, v0
	v_cndmask_b32_e32 v19, 0, v19, vcc
	v_cndmask_b32_e32 v0, v20, v0, vcc
	v_lshlrev_b64 v[19:20], v19, v[21:22]
	v_lshlrev_b32_e32 v20, 24, v21
	v_lshlrev_b32_e32 v19, 20, v19
	v_and_b32_e32 v19, 0x700000, v19
	v_and_b32_e32 v20, 0x80000000, v20
	v_lshl_add_u32 v0, v0, 23, v26
	v_or3_b32 v0, v20, v0, v19
.LBB2_305:                              ;   in Loop: Header=BB2_108 Depth=3
	s_or_b64 exec, exec, s[88:89]
.LBB2_306:                              ;   in Loop: Header=BB2_108 Depth=3
	s_or_b64 exec, exec, s[78:79]
.LBB2_307:                              ;   in Loop: Header=BB2_108 Depth=3
	s_or_b64 exec, exec, s[76:77]
	v_cmp_ne_u16_sdwa s[78:79], v40, v41 src0_sel:BYTE_0 src1_sel:DWORD
	s_and_saveexec_b64 s[76:77], s[78:79]
	s_cbranch_execz .LBB2_313
; %bb.308:                              ;   in Loop: Header=BB2_108 Depth=3
	v_cmp_ne_u16_sdwa s[88:89], v40, s38 src0_sel:BYTE_0 src1_sel:DWORD
	v_bfrev_b32_e32 v17, 1
	s_and_saveexec_b64 s[78:79], s[88:89]
	s_cbranch_execz .LBB2_312
; %bb.309:                              ;   in Loop: Header=BB2_108 Depth=3
	v_and_b32_e32 v19, 0x7f, v40
	v_cmp_ne_u32_e32 vcc, s39, v19
	v_mov_b32_e32 v17, 0x7f800001
	s_and_saveexec_b64 s[88:89], vcc
	s_cbranch_execz .LBB2_311
; %bb.310:                              ;   in Loop: Header=BB2_108 Depth=3
	v_and_b32_e32 v17, 7, v40
	v_ffbh_u32_e32 v17, v17
	v_min_u32_e32 v17, 32, v17
	v_lshrrev_b32_e32 v20, 3, v19
	v_cmp_gt_u32_e32 vcc, 8, v19
	v_subrev_u32_e32 v19, 28, v17
	v_sub_u32_e32 v17, 29, v17
	v_cndmask_b32_e32 v19, 0, v19, vcc
	v_cndmask_b32_e32 v17, v20, v17, vcc
	v_lshlrev_b64 v[19:20], v19, v[40:41]
	v_lshlrev_b32_e32 v20, 24, v40
	v_lshlrev_b32_e32 v19, 20, v19
	v_and_b32_e32 v19, 0x700000, v19
	v_and_b32_e32 v20, 0x80000000, v20
	v_lshl_add_u32 v17, v17, 23, v26
	v_or3_b32 v17, v20, v17, v19
.LBB2_311:                              ;   in Loop: Header=BB2_108 Depth=3
	s_or_b64 exec, exec, s[88:89]
.LBB2_312:                              ;   in Loop: Header=BB2_108 Depth=3
	s_or_b64 exec, exec, s[78:79]
.LBB2_313:                              ;   in Loop: Header=BB2_108 Depth=3
	s_or_b64 exec, exec, s[76:77]
	v_max_f32_e32 v17, v17, v17
	v_max_f32_e32 v0, v0, v0
	;; [unrolled: 1-line block ×3, first 2 shown]
.LBB2_314:                              ;   in Loop: Header=BB2_108 Depth=3
	s_andn2_saveexec_b64 s[74:75], s[74:75]
	s_cbranch_execz .LBB2_328
; %bb.315:                              ;   in Loop: Header=BB2_108 Depth=3
	v_mov_b32_e32 v17, 0
	v_mov_b32_e32 v0, 0
	s_and_saveexec_b64 s[76:77], s[20:21]
	s_cbranch_execz .LBB2_321
; %bb.316:                              ;   in Loop: Header=BB2_108 Depth=3
	v_cmp_ne_u16_sdwa s[78:79], v21, s38 src0_sel:BYTE_0 src1_sel:DWORD
	v_bfrev_b32_e32 v0, 1
	s_and_saveexec_b64 s[20:21], s[78:79]
	s_cbranch_execz .LBB2_320
; %bb.317:                              ;   in Loop: Header=BB2_108 Depth=3
	v_and_b32_e32 v19, 0x7f, v21
	v_cmp_ne_u32_e32 vcc, s39, v19
	v_mov_b32_e32 v0, 0x7f800001
	s_and_saveexec_b64 s[78:79], vcc
	s_cbranch_execz .LBB2_319
; %bb.318:                              ;   in Loop: Header=BB2_108 Depth=3
	v_and_b32_e32 v0, 7, v21
	v_ffbh_u32_e32 v0, v0
	v_min_u32_e32 v0, 32, v0
	v_lshrrev_b32_e32 v20, 3, v19
	v_cmp_gt_u32_e32 vcc, 8, v19
	v_subrev_u32_e32 v19, 28, v0
	v_sub_u32_e32 v0, 29, v0
	v_cndmask_b32_e32 v19, 0, v19, vcc
	v_cndmask_b32_e32 v0, v20, v0, vcc
	v_lshlrev_b64 v[19:20], v19, v[21:22]
	v_lshlrev_b32_e32 v20, 24, v21
	v_lshlrev_b32_e32 v19, 20, v19
	v_and_b32_e32 v19, 0x700000, v19
	v_and_b32_e32 v20, 0x80000000, v20
	v_lshl_add_u32 v0, v0, 23, v26
	v_or3_b32 v0, v20, v0, v19
.LBB2_319:                              ;   in Loop: Header=BB2_108 Depth=3
	s_or_b64 exec, exec, s[78:79]
.LBB2_320:                              ;   in Loop: Header=BB2_108 Depth=3
	s_or_b64 exec, exec, s[20:21]
.LBB2_321:                              ;   in Loop: Header=BB2_108 Depth=3
	s_or_b64 exec, exec, s[76:77]
	v_cmp_ne_u16_sdwa s[76:77], v40, v41 src0_sel:BYTE_0 src1_sel:DWORD
	s_and_saveexec_b64 s[20:21], s[76:77]
	s_cbranch_execz .LBB2_327
; %bb.322:                              ;   in Loop: Header=BB2_108 Depth=3
	v_cmp_ne_u16_sdwa s[78:79], v40, s38 src0_sel:BYTE_0 src1_sel:DWORD
	v_bfrev_b32_e32 v17, 1
	s_and_saveexec_b64 s[76:77], s[78:79]
	s_cbranch_execz .LBB2_326
; %bb.323:                              ;   in Loop: Header=BB2_108 Depth=3
	v_and_b32_e32 v19, 0x7f, v40
	v_cmp_ne_u32_e32 vcc, s39, v19
	v_mov_b32_e32 v17, 0x7f800001
	s_and_saveexec_b64 s[78:79], vcc
	s_cbranch_execz .LBB2_325
; %bb.324:                              ;   in Loop: Header=BB2_108 Depth=3
	v_and_b32_e32 v17, 7, v40
	v_ffbh_u32_e32 v17, v17
	v_min_u32_e32 v17, 32, v17
	v_lshrrev_b32_e32 v20, 3, v19
	v_cmp_gt_u32_e32 vcc, 8, v19
	v_subrev_u32_e32 v19, 28, v17
	v_sub_u32_e32 v17, 29, v17
	v_cndmask_b32_e32 v19, 0, v19, vcc
	v_cndmask_b32_e32 v17, v20, v17, vcc
	v_lshlrev_b64 v[19:20], v19, v[40:41]
	v_lshlrev_b32_e32 v20, 24, v40
	v_lshlrev_b32_e32 v19, 20, v19
	v_and_b32_e32 v19, 0x700000, v19
	v_and_b32_e32 v20, 0x80000000, v20
	v_lshl_add_u32 v17, v17, 23, v26
	v_or3_b32 v17, v20, v17, v19
.LBB2_325:                              ;   in Loop: Header=BB2_108 Depth=3
	s_or_b64 exec, exec, s[78:79]
.LBB2_326:                              ;   in Loop: Header=BB2_108 Depth=3
	s_or_b64 exec, exec, s[76:77]
.LBB2_327:                              ;   in Loop: Header=BB2_108 Depth=3
	s_or_b64 exec, exec, s[20:21]
	v_max_f32_e32 v17, v17, v17
	v_max_f32_e32 v0, v0, v0
	v_min_f32_e32 v17, v0, v17
.LBB2_328:                              ;   in Loop: Header=BB2_108 Depth=3
	s_or_b64 exec, exec, s[74:75]
	v_and_b32_e32 v19, 0x7f800000, v17
	v_mov_b32_e32 v20, v41
	v_cmp_ne_u64_e32 vcc, s[56:57], v[19:20]
                                        ; implicit-def: $vgpr44
	s_and_saveexec_b64 s[20:21], vcc
	s_xor_b64 s[74:75], exec, s[20:21]
	s_cbranch_execz .LBB2_342
; %bb.329:                              ;   in Loop: Header=BB2_108 Depth=3
	v_and_b32_e32 v19, 0x7fffffff, v17
	v_mov_b32_e32 v20, v41
	v_cmp_gt_u64_e32 vcc, s[58:59], v[19:20]
	v_and_b32_sdwa v0, v17, s38 dst_sel:DWORD dst_unused:UNUSED_PAD src0_sel:BYTE_3 src1_sel:DWORD
                                        ; implicit-def: $vgpr44
	s_and_saveexec_b64 s[20:21], vcc
	s_xor_b64 s[76:77], exec, s[20:21]
	s_cbranch_execz .LBB2_339
; %bb.330:                              ;   in Loop: Header=BB2_108 Depth=3
	v_mov_b32_e32 v44, 0
	v_cmp_ne_u32_e32 vcc, 0, v17
	s_and_saveexec_b64 s[78:79], vcc
	s_cbranch_execz .LBB2_338
; %bb.331:                              ;   in Loop: Header=BB2_108 Depth=3
	v_and_b32_e32 v19, 0x7fffff, v17
	v_bfe_u32 v17, v17, 23, 8
	v_cmp_gt_u32_e64 s[20:21], s48, v17
	v_sub_u32_e32 v20, 0x79, v17
	v_cmp_eq_u32_e32 vcc, 0, v17
	v_cndmask_b32_e64 v20, 0, v20, s[20:21]
	v_or_b32_e32 v27, 0x800000, v19
	v_cndmask_b32_e32 v22, v20, v7, vcc
	v_cndmask_b32_e32 v19, v27, v19, vcc
	v_add_u32_e32 v27, 20, v22
	v_lshlrev_b64 v[27:28], v27, -1
	v_mov_b32_e32 v20, v41
	v_add_u32_e32 v44, 19, v22
	v_bfi_b32 v27, v27, 0, v19
	v_lshlrev_b64 v[44:45], v44, 1
	v_lshrrev_b64 v[19:20], v22, v[19:20]
	v_bfi_b32 v28, v28, 0, 0
	v_cmp_eq_u64_e64 s[20:21], v[27:28], v[44:45]
	v_mov_b32_e32 v28, v20
	v_mov_b32_e32 v27, v19
	s_and_saveexec_b64 s[88:89], s[20:21]
; %bb.332:                              ;   in Loop: Header=BB2_108 Depth=3
	v_bfe_u32 v20, v19, 20, 1
	v_add_co_u32_e64 v20, s[20:21], v19, v20
	v_add_co_u32_e64 v27, s[20:21], -1, v20
; %bb.333:                              ;   in Loop: Header=BB2_108 Depth=3
	s_or_b64 exec, exec, s[88:89]
	v_add_u32_e32 v17, 0xffffff81, v17
	v_cndmask_b32_e32 v17, v17, v8, vcc
	v_lshrrev_b32_e32 v20, 23, v19
	v_add3_u32 v28, v22, v17, v20
	v_add_u32_e32 v22, 6, v28
	v_and_b32_e32 v17, 0xfffff, v27
	v_add_u32_e32 v19, v17, v19
	v_mov_b32_e32 v20, v41
	v_cmp_ne_u32_e32 vcc, 0, v22
                                        ; implicit-def: $vgpr17
	s_and_saveexec_b64 s[20:21], vcc
	s_xor_b64 s[20:21], exec, s[20:21]
; %bb.334:                              ;   in Loop: Header=BB2_108 Depth=3
	v_cmp_lt_u64_e32 vcc, s[60:61], v[19:20]
	v_add_u32_e32 v17, 7, v28
	v_cndmask_b32_e32 v17, v22, v17, vcc
	v_cndmask_b32_e64 v22, 0, 1, vcc
	v_lshrrev_b64 v[19:20], v22, v[19:20]
; %bb.335:                              ;   in Loop: Header=BB2_108 Depth=3
	s_andn2_saveexec_b64 s[20:21], s[20:21]
; %bb.336:                              ;   in Loop: Header=BB2_108 Depth=3
	v_bfe_u32 v17, v19, 23, 1
; %bb.337:                              ;   in Loop: Header=BB2_108 Depth=3
	s_or_b64 exec, exec, s[20:21]
	v_lshrrev_b64 v[19:20], 20, v[19:20]
	v_cmp_gt_i32_e32 vcc, 16, v17
	v_cndmask_b32_e32 v20, 0, v20, vcc
	v_cndmask_b32_e32 v19, 7, v19, vcc
	v_cmp_eq_u32_e32 vcc, 0, v17
	v_min_i32_e32 v17, 15, v17
	v_cmp_eq_u64_e64 s[20:21], 0, v[19:20]
	v_lshlrev_b32_e32 v17, 3, v17
	v_and_b32_e32 v17, 0xf8, v17
	v_and_or_b32 v17, v19, 7, v17
	s_and_b64 s[20:21], vcc, s[20:21]
	v_cndmask_b32_e64 v17, v17, 0, s[20:21]
	v_or_b32_e32 v44, v17, v0
.LBB2_338:                              ;   in Loop: Header=BB2_108 Depth=3
	s_or_b64 exec, exec, s[78:79]
                                        ; implicit-def: $vgpr0
.LBB2_339:                              ;   in Loop: Header=BB2_108 Depth=3
	s_andn2_saveexec_b64 s[20:21], s[76:77]
; %bb.340:                              ;   in Loop: Header=BB2_108 Depth=3
	v_or_b32_e32 v44, 0x7e, v0
; %bb.341:                              ;   in Loop: Header=BB2_108 Depth=3
	s_or_b64 exec, exec, s[20:21]
                                        ; implicit-def: $vgpr17
.LBB2_342:                              ;   in Loop: Header=BB2_108 Depth=3
	s_andn2_saveexec_b64 s[20:21], s[74:75]
; %bb.343:                              ;   in Loop: Header=BB2_108 Depth=3
	v_or_b32_sdwa v44, v17, s39 dst_sel:DWORD dst_unused:UNUSED_PAD src0_sel:BYTE_3 src1_sel:DWORD
; %bb.344:                              ;   in Loop: Header=BB2_108 Depth=3
	s_or_b64 exec, exec, s[20:21]
	v_lshrrev_b16_e32 v17, 8, v21
	v_lshrrev_b16_e32 v0, 8, v40
	v_cmp_ne_u16_e32 vcc, 0, v17
                                        ; implicit-def: $vgpr19
	s_and_saveexec_b64 s[20:21], s[14:15]
	s_xor_b64 s[74:75], exec, s[20:21]
	s_cbranch_execz .LBB2_358
; %bb.345:                              ;   in Loop: Header=BB2_108 Depth=3
	v_mov_b32_e32 v20, 0
	v_mov_b32_e32 v19, 0
	s_and_saveexec_b64 s[76:77], vcc
	s_cbranch_execz .LBB2_351
; %bb.346:                              ;   in Loop: Header=BB2_108 Depth=3
	v_cmp_ne_u16_e64 s[20:21], s38, v17
	v_bfrev_b32_e32 v19, 1
	s_and_saveexec_b64 s[78:79], s[20:21]
	s_cbranch_execz .LBB2_350
; %bb.347:                              ;   in Loop: Header=BB2_108 Depth=3
	v_and_b32_e32 v22, 0x7f, v17
	v_cmp_ne_u32_e64 s[20:21], s39, v22
	v_mov_b32_e32 v19, 0x7f800001
	s_and_saveexec_b64 s[88:89], s[20:21]
	s_cbranch_execz .LBB2_349
; %bb.348:                              ;   in Loop: Header=BB2_108 Depth=3
	v_and_b32_e32 v19, 7, v17
	v_lshrrev_b32_e32 v45, 3, v22
	v_cmp_gt_u32_e64 s[20:21], 8, v22
	v_ffbh_u32_e32 v22, v19
	v_min_u32_e32 v22, 32, v22
	v_subrev_u32_e32 v27, 28, v22
	v_lshlrev_b64 v[27:28], v27, v[17:18]
	v_sub_u32_e32 v17, 29, v22
	v_and_b32_e32 v22, 7, v27
	v_cndmask_b32_e64 v17, v45, v17, s[20:21]
	v_cndmask_b32_e64 v19, v19, v22, s[20:21]
	v_lshlrev_b32_e32 v22, 16, v21
	v_lshlrev_b32_e32 v19, 20, v19
	v_and_b32_e32 v22, 0x80000000, v22
	v_lshl_add_u32 v17, v17, 23, v26
	v_or3_b32 v19, v22, v17, v19
.LBB2_349:                              ;   in Loop: Header=BB2_108 Depth=3
	s_or_b64 exec, exec, s[88:89]
.LBB2_350:                              ;   in Loop: Header=BB2_108 Depth=3
	s_or_b64 exec, exec, s[78:79]
.LBB2_351:                              ;   in Loop: Header=BB2_108 Depth=3
	s_or_b64 exec, exec, s[76:77]
	v_cmp_ne_u16_e64 s[20:21], 0, v0
	s_and_saveexec_b64 s[76:77], s[20:21]
	s_cbranch_execz .LBB2_357
; %bb.352:                              ;   in Loop: Header=BB2_108 Depth=3
	v_cmp_ne_u16_e64 s[20:21], s38, v0
	v_bfrev_b32_e32 v20, 1
	s_and_saveexec_b64 s[78:79], s[20:21]
	s_cbranch_execz .LBB2_356
; %bb.353:                              ;   in Loop: Header=BB2_108 Depth=3
	v_and_b32_e32 v17, 0x7f, v0
	v_cmp_ne_u32_e64 s[20:21], s39, v17
	v_mov_b32_e32 v20, 0x7f800001
	s_and_saveexec_b64 s[88:89], s[20:21]
	s_cbranch_execz .LBB2_355
; %bb.354:                              ;   in Loop: Header=BB2_108 Depth=3
	v_and_b32_e32 v20, 7, v0
	v_lshrrev_b32_e32 v22, 3, v17
	v_cmp_gt_u32_e64 s[20:21], 8, v17
	v_ffbh_u32_e32 v17, v20
	v_min_u32_e32 v17, 32, v17
	v_subrev_u32_e32 v27, 28, v17
	v_lshlrev_b64 v[27:28], v27, v[0:1]
	v_sub_u32_e32 v0, 29, v17
	v_and_b32_e32 v17, 7, v27
	v_cndmask_b32_e64 v0, v22, v0, s[20:21]
	v_cndmask_b32_e64 v17, v20, v17, s[20:21]
	v_lshlrev_b32_e32 v20, 16, v40
	v_lshlrev_b32_e32 v17, 20, v17
	v_and_b32_e32 v20, 0x80000000, v20
	v_lshl_add_u32 v0, v0, 23, v26
	v_or3_b32 v20, v20, v0, v17
.LBB2_355:                              ;   in Loop: Header=BB2_108 Depth=3
	s_or_b64 exec, exec, s[88:89]
.LBB2_356:                              ;   in Loop: Header=BB2_108 Depth=3
	s_or_b64 exec, exec, s[78:79]
.LBB2_357:                              ;   in Loop: Header=BB2_108 Depth=3
	s_or_b64 exec, exec, s[76:77]
	v_max_f32_e32 v0, v20, v20
	v_max_f32_e32 v17, v19, v19
	;; [unrolled: 1-line block ×3, first 2 shown]
                                        ; implicit-def: $vgpr0
                                        ; implicit-def: $vgpr17
.LBB2_358:                              ;   in Loop: Header=BB2_108 Depth=3
	s_andn2_saveexec_b64 s[20:21], s[74:75]
	s_cbranch_execz .LBB2_372
; %bb.359:                              ;   in Loop: Header=BB2_108 Depth=3
	v_mov_b32_e32 v20, 0
	v_mov_b32_e32 v19, 0
	s_and_saveexec_b64 s[74:75], vcc
	s_cbranch_execz .LBB2_365
; %bb.360:                              ;   in Loop: Header=BB2_108 Depth=3
	v_cmp_ne_u16_e32 vcc, s38, v17
	v_bfrev_b32_e32 v19, 1
	s_and_saveexec_b64 s[76:77], vcc
	s_cbranch_execz .LBB2_364
; %bb.361:                              ;   in Loop: Header=BB2_108 Depth=3
	v_and_b32_e32 v22, 0x7f, v17
	v_cmp_ne_u32_e32 vcc, s39, v22
	v_mov_b32_e32 v19, 0x7f800001
	s_and_saveexec_b64 s[78:79], vcc
	s_cbranch_execz .LBB2_363
; %bb.362:                              ;   in Loop: Header=BB2_108 Depth=3
	v_and_b32_e32 v19, 7, v17
	v_lshrrev_b32_e32 v45, 3, v22
	v_cmp_gt_u32_e32 vcc, 8, v22
	v_ffbh_u32_e32 v22, v19
	v_min_u32_e32 v22, 32, v22
	v_subrev_u32_e32 v27, 28, v22
	v_lshlrev_b64 v[27:28], v27, v[17:18]
	v_sub_u32_e32 v17, 29, v22
	v_and_b32_e32 v22, 7, v27
	v_cndmask_b32_e32 v17, v45, v17, vcc
	v_cndmask_b32_e32 v19, v19, v22, vcc
	v_lshlrev_b32_e32 v22, 16, v21
	v_lshlrev_b32_e32 v19, 20, v19
	v_and_b32_e32 v22, 0x80000000, v22
	v_lshl_add_u32 v17, v17, 23, v26
	v_or3_b32 v19, v22, v17, v19
.LBB2_363:                              ;   in Loop: Header=BB2_108 Depth=3
	s_or_b64 exec, exec, s[78:79]
.LBB2_364:                              ;   in Loop: Header=BB2_108 Depth=3
	s_or_b64 exec, exec, s[76:77]
.LBB2_365:                              ;   in Loop: Header=BB2_108 Depth=3
	s_or_b64 exec, exec, s[74:75]
	v_cmp_ne_u16_e32 vcc, 0, v0
	s_and_saveexec_b64 s[74:75], vcc
	s_cbranch_execz .LBB2_371
; %bb.366:                              ;   in Loop: Header=BB2_108 Depth=3
	v_cmp_ne_u16_e32 vcc, s38, v0
	v_bfrev_b32_e32 v20, 1
	s_and_saveexec_b64 s[76:77], vcc
	s_cbranch_execz .LBB2_370
; %bb.367:                              ;   in Loop: Header=BB2_108 Depth=3
	v_and_b32_e32 v17, 0x7f, v0
	v_cmp_ne_u32_e32 vcc, s39, v17
	v_mov_b32_e32 v20, 0x7f800001
	s_and_saveexec_b64 s[78:79], vcc
	s_cbranch_execz .LBB2_369
; %bb.368:                              ;   in Loop: Header=BB2_108 Depth=3
	v_and_b32_e32 v20, 7, v0
	v_lshrrev_b32_e32 v22, 3, v17
	v_cmp_gt_u32_e32 vcc, 8, v17
	v_ffbh_u32_e32 v17, v20
	v_min_u32_e32 v17, 32, v17
	v_subrev_u32_e32 v27, 28, v17
	v_lshlrev_b64 v[27:28], v27, v[0:1]
	v_sub_u32_e32 v0, 29, v17
	v_and_b32_e32 v17, 7, v27
	v_cndmask_b32_e32 v0, v22, v0, vcc
	v_cndmask_b32_e32 v17, v20, v17, vcc
	v_lshlrev_b32_e32 v20, 16, v40
	v_lshlrev_b32_e32 v17, 20, v17
	v_and_b32_e32 v20, 0x80000000, v20
	v_lshl_add_u32 v0, v0, 23, v26
	v_or3_b32 v20, v20, v0, v17
.LBB2_369:                              ;   in Loop: Header=BB2_108 Depth=3
	s_or_b64 exec, exec, s[78:79]
.LBB2_370:                              ;   in Loop: Header=BB2_108 Depth=3
	s_or_b64 exec, exec, s[76:77]
.LBB2_371:                              ;   in Loop: Header=BB2_108 Depth=3
	s_or_b64 exec, exec, s[74:75]
	v_max_f32_e32 v0, v20, v20
	v_max_f32_e32 v17, v19, v19
	v_min_f32_e32 v19, v17, v0
.LBB2_372:                              ;   in Loop: Header=BB2_108 Depth=3
	s_or_b64 exec, exec, s[20:21]
	v_and_b32_e32 v27, 0x7f800000, v19
	v_mov_b32_e32 v28, v41
	v_cmp_ne_u64_e32 vcc, s[56:57], v[27:28]
                                        ; implicit-def: $vgpr45
	s_and_saveexec_b64 s[20:21], vcc
	s_xor_b64 s[74:75], exec, s[20:21]
	s_cbranch_execz .LBB2_386
; %bb.373:                              ;   in Loop: Header=BB2_108 Depth=3
	v_and_b32_e32 v27, 0x7fffffff, v19
	v_mov_b32_e32 v28, v41
	v_cmp_gt_u64_e32 vcc, s[58:59], v[27:28]
	v_and_b32_sdwa v0, v19, s38 dst_sel:DWORD dst_unused:UNUSED_PAD src0_sel:BYTE_3 src1_sel:DWORD
                                        ; implicit-def: $vgpr45
	s_and_saveexec_b64 s[20:21], vcc
	s_xor_b64 s[76:77], exec, s[20:21]
	s_cbranch_execz .LBB2_383
; %bb.374:                              ;   in Loop: Header=BB2_108 Depth=3
	v_mov_b32_e32 v45, 0
	v_cmp_ne_u32_e32 vcc, 0, v19
	s_and_saveexec_b64 s[78:79], vcc
	s_cbranch_execz .LBB2_382
; %bb.375:                              ;   in Loop: Header=BB2_108 Depth=3
	v_bfe_u32 v17, v19, 23, 8
	v_and_b32_e32 v20, 0x7fffff, v19
	v_cmp_gt_u32_e64 s[20:21], s48, v17
	v_sub_u32_e32 v19, 0x79, v17
	v_cmp_eq_u32_e32 vcc, 0, v17
	v_cndmask_b32_e64 v19, 0, v19, s[20:21]
	v_or_b32_e32 v27, 0x800000, v20
	v_cndmask_b32_e32 v22, v19, v7, vcc
	v_cndmask_b32_e32 v19, v27, v20, vcc
	v_add_u32_e32 v27, 20, v22
	v_lshlrev_b64 v[27:28], v27, -1
	v_mov_b32_e32 v20, v41
	v_add_u32_e32 v45, 19, v22
	v_bfi_b32 v27, v27, 0, v19
	v_lshlrev_b64 v[56:57], v45, 1
	v_lshrrev_b64 v[19:20], v22, v[19:20]
	v_bfi_b32 v28, v28, 0, 0
	v_cmp_eq_u64_e64 s[20:21], v[27:28], v[56:57]
	v_mov_b32_e32 v28, v20
	v_mov_b32_e32 v27, v19
	s_and_saveexec_b64 s[88:89], s[20:21]
; %bb.376:                              ;   in Loop: Header=BB2_108 Depth=3
	v_bfe_u32 v20, v19, 20, 1
	v_add_co_u32_e64 v20, s[20:21], v19, v20
	v_add_co_u32_e64 v27, s[20:21], -1, v20
; %bb.377:                              ;   in Loop: Header=BB2_108 Depth=3
	s_or_b64 exec, exec, s[88:89]
	v_add_u32_e32 v17, 0xffffff81, v17
	v_cndmask_b32_e32 v17, v17, v8, vcc
	v_lshrrev_b32_e32 v20, 23, v19
	v_add3_u32 v28, v22, v17, v20
	v_add_u32_e32 v22, 6, v28
	v_and_b32_e32 v17, 0xfffff, v27
	v_add_u32_e32 v19, v17, v19
	v_mov_b32_e32 v20, v41
	v_cmp_ne_u32_e32 vcc, 0, v22
                                        ; implicit-def: $vgpr17
	s_and_saveexec_b64 s[20:21], vcc
	s_xor_b64 s[20:21], exec, s[20:21]
; %bb.378:                              ;   in Loop: Header=BB2_108 Depth=3
	v_cmp_lt_u64_e32 vcc, s[60:61], v[19:20]
	v_add_u32_e32 v17, 7, v28
	v_cndmask_b32_e32 v17, v22, v17, vcc
	v_cndmask_b32_e64 v22, 0, 1, vcc
	v_lshrrev_b64 v[19:20], v22, v[19:20]
; %bb.379:                              ;   in Loop: Header=BB2_108 Depth=3
	s_andn2_saveexec_b64 s[20:21], s[20:21]
; %bb.380:                              ;   in Loop: Header=BB2_108 Depth=3
	v_bfe_u32 v17, v19, 23, 1
; %bb.381:                              ;   in Loop: Header=BB2_108 Depth=3
	s_or_b64 exec, exec, s[20:21]
	v_lshrrev_b64 v[19:20], 20, v[19:20]
	v_cmp_gt_i32_e32 vcc, 16, v17
	v_cndmask_b32_e32 v20, 0, v20, vcc
	v_cndmask_b32_e32 v19, 7, v19, vcc
	v_cmp_eq_u32_e32 vcc, 0, v17
	v_min_i32_e32 v17, 15, v17
	v_cmp_eq_u64_e64 s[20:21], 0, v[19:20]
	v_lshlrev_b32_e32 v17, 3, v17
	v_and_b32_e32 v17, 0xf8, v17
	v_and_or_b32 v17, v19, 7, v17
	s_and_b64 s[20:21], vcc, s[20:21]
	v_cndmask_b32_e64 v17, v17, 0, s[20:21]
	v_or_b32_e32 v45, v17, v0
.LBB2_382:                              ;   in Loop: Header=BB2_108 Depth=3
	s_or_b64 exec, exec, s[78:79]
                                        ; implicit-def: $vgpr0
.LBB2_383:                              ;   in Loop: Header=BB2_108 Depth=3
	s_andn2_saveexec_b64 s[20:21], s[76:77]
; %bb.384:                              ;   in Loop: Header=BB2_108 Depth=3
	v_or_b32_e32 v45, 0x7e, v0
; %bb.385:                              ;   in Loop: Header=BB2_108 Depth=3
	s_or_b64 exec, exec, s[20:21]
                                        ; implicit-def: $vgpr19
.LBB2_386:                              ;   in Loop: Header=BB2_108 Depth=3
	s_andn2_saveexec_b64 s[20:21], s[74:75]
; %bb.387:                              ;   in Loop: Header=BB2_108 Depth=3
	v_or_b32_sdwa v45, v19, s39 dst_sel:DWORD dst_unused:UNUSED_PAD src0_sel:BYTE_3 src1_sel:DWORD
; %bb.388:                              ;   in Loop: Header=BB2_108 Depth=3
	s_or_b64 exec, exec, s[20:21]
	v_lshrrev_b32_e32 v17, 16, v21
	v_lshrrev_b32_e32 v0, 16, v40
	v_cmp_ne_u16_sdwa s[20:21], v17, v41 src0_sel:BYTE_0 src1_sel:DWORD
                                        ; implicit-def: $vgpr19
	s_and_saveexec_b64 s[74:75], s[14:15]
	s_xor_b64 s[74:75], exec, s[74:75]
	s_cbranch_execz .LBB2_402
; %bb.389:                              ;   in Loop: Header=BB2_108 Depth=3
	v_mov_b32_e32 v20, 0
	v_mov_b32_e32 v19, 0
	s_and_saveexec_b64 s[76:77], s[20:21]
	s_cbranch_execz .LBB2_395
; %bb.390:                              ;   in Loop: Header=BB2_108 Depth=3
	v_cmp_ne_u16_sdwa s[88:89], v17, s38 src0_sel:BYTE_0 src1_sel:DWORD
	v_bfrev_b32_e32 v19, 1
	s_and_saveexec_b64 s[78:79], s[88:89]
	s_cbranch_execz .LBB2_394
; %bb.391:                              ;   in Loop: Header=BB2_108 Depth=3
	v_bfe_u32 v22, v21, 16, 7
	v_cmp_ne_u32_e32 vcc, s39, v22
	v_mov_b32_e32 v19, 0x7f800001
	s_and_saveexec_b64 s[88:89], vcc
	s_cbranch_execz .LBB2_393
; %bb.392:                              ;   in Loop: Header=BB2_108 Depth=3
	v_and_b32_e32 v19, 7, v17
	v_lshrrev_b32_e32 v56, 3, v22
	v_cmp_gt_u32_e32 vcc, 8, v22
	v_ffbh_u32_e32 v22, v19
	v_min_u32_e32 v22, 32, v22
	v_subrev_u32_e32 v27, 28, v22
	v_lshlrev_b64 v[27:28], v27, v[17:18]
	v_sub_u32_e32 v22, 29, v22
	v_and_b32_e32 v27, 7, v27
	v_cndmask_b32_e32 v22, v56, v22, vcc
	v_cndmask_b32_e32 v19, v19, v27, vcc
	v_lshlrev_b32_e32 v17, 24, v17
	v_lshlrev_b32_e32 v19, 20, v19
	v_and_b32_e32 v17, 0x80000000, v17
	v_lshl_add_u32 v22, v22, 23, v26
	v_or3_b32 v19, v17, v22, v19
.LBB2_393:                              ;   in Loop: Header=BB2_108 Depth=3
	s_or_b64 exec, exec, s[88:89]
.LBB2_394:                              ;   in Loop: Header=BB2_108 Depth=3
	s_or_b64 exec, exec, s[78:79]
.LBB2_395:                              ;   in Loop: Header=BB2_108 Depth=3
	s_or_b64 exec, exec, s[76:77]
	v_and_b32_sdwa v17, v40, s37 dst_sel:DWORD dst_unused:UNUSED_PAD src0_sel:WORD_1 src1_sel:DWORD
	v_cmp_ne_u16_e32 vcc, 0, v17
	s_and_saveexec_b64 s[76:77], vcc
	s_cbranch_execz .LBB2_401
; %bb.396:                              ;   in Loop: Header=BB2_108 Depth=3
	v_cmp_ne_u16_e32 vcc, s38, v17
	v_bfrev_b32_e32 v20, 1
	s_and_saveexec_b64 s[78:79], vcc
	s_cbranch_execz .LBB2_400
; %bb.397:                              ;   in Loop: Header=BB2_108 Depth=3
	v_bfe_u32 v17, v40, 16, 7
	v_cmp_ne_u32_e32 vcc, s39, v17
	v_mov_b32_e32 v20, 0x7f800001
	s_and_saveexec_b64 s[88:89], vcc
	s_cbranch_execz .LBB2_399
; %bb.398:                              ;   in Loop: Header=BB2_108 Depth=3
	v_and_b32_e32 v20, 7, v0
	v_lshrrev_b32_e32 v22, 3, v17
	v_cmp_gt_u32_e32 vcc, 8, v17
	v_ffbh_u32_e32 v17, v20
	v_min_u32_e32 v17, 32, v17
	v_subrev_u32_e32 v27, 28, v17
	v_lshlrev_b64 v[27:28], v27, v[0:1]
	v_sub_u32_e32 v0, 29, v17
	v_and_b32_e32 v17, 7, v27
	v_cndmask_b32_e32 v0, v22, v0, vcc
	v_cndmask_b32_e32 v17, v20, v17, vcc
	v_lshlrev_b32_sdwa v20, v54, v40 dst_sel:DWORD dst_unused:UNUSED_PAD src0_sel:DWORD src1_sel:WORD_1
	v_lshlrev_b32_e32 v17, 20, v17
	v_and_b32_e32 v20, 0x80000000, v20
	v_lshl_add_u32 v0, v0, 23, v26
	v_or3_b32 v20, v20, v0, v17
.LBB2_399:                              ;   in Loop: Header=BB2_108 Depth=3
	s_or_b64 exec, exec, s[88:89]
.LBB2_400:                              ;   in Loop: Header=BB2_108 Depth=3
	s_or_b64 exec, exec, s[78:79]
.LBB2_401:                              ;   in Loop: Header=BB2_108 Depth=3
	s_or_b64 exec, exec, s[76:77]
	v_max_f32_e32 v0, v20, v20
	v_max_f32_e32 v17, v19, v19
	;; [unrolled: 1-line block ×3, first 2 shown]
                                        ; implicit-def: $vgpr17
                                        ; implicit-def: $vgpr0
.LBB2_402:                              ;   in Loop: Header=BB2_108 Depth=3
	s_andn2_saveexec_b64 s[74:75], s[74:75]
	s_cbranch_execz .LBB2_416
; %bb.403:                              ;   in Loop: Header=BB2_108 Depth=3
	v_mov_b32_e32 v20, 0
	v_mov_b32_e32 v19, 0
	s_and_saveexec_b64 s[76:77], s[20:21]
	s_cbranch_execz .LBB2_409
; %bb.404:                              ;   in Loop: Header=BB2_108 Depth=3
	v_cmp_ne_u16_sdwa s[78:79], v17, s38 src0_sel:BYTE_0 src1_sel:DWORD
	v_bfrev_b32_e32 v19, 1
	s_and_saveexec_b64 s[20:21], s[78:79]
	s_cbranch_execz .LBB2_408
; %bb.405:                              ;   in Loop: Header=BB2_108 Depth=3
	v_bfe_u32 v22, v21, 16, 7
	v_cmp_ne_u32_e32 vcc, s39, v22
	v_mov_b32_e32 v19, 0x7f800001
	s_and_saveexec_b64 s[78:79], vcc
	s_cbranch_execz .LBB2_407
; %bb.406:                              ;   in Loop: Header=BB2_108 Depth=3
	v_and_b32_e32 v19, 7, v17
	v_lshrrev_b32_e32 v56, 3, v22
	v_cmp_gt_u32_e32 vcc, 8, v22
	v_ffbh_u32_e32 v22, v19
	v_min_u32_e32 v22, 32, v22
	v_subrev_u32_e32 v27, 28, v22
	v_lshlrev_b64 v[27:28], v27, v[17:18]
	v_sub_u32_e32 v22, 29, v22
	v_and_b32_e32 v27, 7, v27
	v_cndmask_b32_e32 v22, v56, v22, vcc
	v_cndmask_b32_e32 v19, v19, v27, vcc
	v_lshlrev_b32_e32 v17, 24, v17
	v_lshlrev_b32_e32 v19, 20, v19
	v_and_b32_e32 v17, 0x80000000, v17
	v_lshl_add_u32 v22, v22, 23, v26
	v_or3_b32 v19, v17, v22, v19
.LBB2_407:                              ;   in Loop: Header=BB2_108 Depth=3
	s_or_b64 exec, exec, s[78:79]
.LBB2_408:                              ;   in Loop: Header=BB2_108 Depth=3
	s_or_b64 exec, exec, s[20:21]
.LBB2_409:                              ;   in Loop: Header=BB2_108 Depth=3
	s_or_b64 exec, exec, s[76:77]
	v_and_b32_sdwa v17, v40, s37 dst_sel:DWORD dst_unused:UNUSED_PAD src0_sel:WORD_1 src1_sel:DWORD
	v_cmp_ne_u16_e32 vcc, 0, v17
	s_and_saveexec_b64 s[20:21], vcc
	s_cbranch_execz .LBB2_415
; %bb.410:                              ;   in Loop: Header=BB2_108 Depth=3
	v_cmp_ne_u16_e32 vcc, s38, v17
	v_bfrev_b32_e32 v20, 1
	s_and_saveexec_b64 s[76:77], vcc
	s_cbranch_execz .LBB2_414
; %bb.411:                              ;   in Loop: Header=BB2_108 Depth=3
	v_bfe_u32 v17, v40, 16, 7
	v_cmp_ne_u32_e32 vcc, s39, v17
	v_mov_b32_e32 v20, 0x7f800001
	s_and_saveexec_b64 s[78:79], vcc
	s_cbranch_execz .LBB2_413
; %bb.412:                              ;   in Loop: Header=BB2_108 Depth=3
	v_and_b32_e32 v20, 7, v0
	v_lshrrev_b32_e32 v22, 3, v17
	v_cmp_gt_u32_e32 vcc, 8, v17
	v_ffbh_u32_e32 v17, v20
	v_min_u32_e32 v17, 32, v17
	v_subrev_u32_e32 v27, 28, v17
	v_lshlrev_b64 v[27:28], v27, v[0:1]
	v_sub_u32_e32 v0, 29, v17
	v_and_b32_e32 v17, 7, v27
	v_cndmask_b32_e32 v0, v22, v0, vcc
	v_cndmask_b32_e32 v17, v20, v17, vcc
	v_lshlrev_b32_sdwa v20, v54, v40 dst_sel:DWORD dst_unused:UNUSED_PAD src0_sel:DWORD src1_sel:WORD_1
	v_lshlrev_b32_e32 v17, 20, v17
	v_and_b32_e32 v20, 0x80000000, v20
	v_lshl_add_u32 v0, v0, 23, v26
	v_or3_b32 v20, v20, v0, v17
.LBB2_413:                              ;   in Loop: Header=BB2_108 Depth=3
	s_or_b64 exec, exec, s[78:79]
.LBB2_414:                              ;   in Loop: Header=BB2_108 Depth=3
	s_or_b64 exec, exec, s[76:77]
.LBB2_415:                              ;   in Loop: Header=BB2_108 Depth=3
	s_or_b64 exec, exec, s[20:21]
	v_max_f32_e32 v0, v20, v20
	v_max_f32_e32 v17, v19, v19
	v_min_f32_e32 v19, v17, v0
.LBB2_416:                              ;   in Loop: Header=BB2_108 Depth=3
	s_or_b64 exec, exec, s[74:75]
	v_and_b32_e32 v27, 0x7f800000, v19
	v_mov_b32_e32 v28, v41
	v_cmp_ne_u64_e32 vcc, s[56:57], v[27:28]
                                        ; implicit-def: $vgpr27
	s_and_saveexec_b64 s[20:21], vcc
	s_xor_b64 s[74:75], exec, s[20:21]
	s_cbranch_execz .LBB2_430
; %bb.417:                              ;   in Loop: Header=BB2_108 Depth=3
	v_and_b32_e32 v27, 0x7fffffff, v19
	v_mov_b32_e32 v28, v41
	v_cmp_gt_u64_e32 vcc, s[58:59], v[27:28]
	v_and_b32_sdwa v0, v19, s38 dst_sel:DWORD dst_unused:UNUSED_PAD src0_sel:BYTE_3 src1_sel:DWORD
                                        ; implicit-def: $vgpr27
	s_and_saveexec_b64 s[20:21], vcc
	s_xor_b64 s[76:77], exec, s[20:21]
	s_cbranch_execz .LBB2_427
; %bb.418:                              ;   in Loop: Header=BB2_108 Depth=3
	v_mov_b32_e32 v27, 0
	v_cmp_ne_u32_e32 vcc, 0, v19
	s_and_saveexec_b64 s[78:79], vcc
	s_cbranch_execz .LBB2_426
; %bb.419:                              ;   in Loop: Header=BB2_108 Depth=3
	v_bfe_u32 v17, v19, 23, 8
	v_and_b32_e32 v20, 0x7fffff, v19
	v_cmp_gt_u32_e64 s[20:21], s48, v17
	v_sub_u32_e32 v19, 0x79, v17
	v_cmp_eq_u32_e32 vcc, 0, v17
	v_cndmask_b32_e64 v19, 0, v19, s[20:21]
	v_or_b32_e32 v27, 0x800000, v20
	v_cndmask_b32_e32 v22, v19, v7, vcc
	v_cndmask_b32_e32 v19, v27, v20, vcc
	v_add_u32_e32 v27, 20, v22
	v_lshlrev_b64 v[27:28], v27, -1
	v_mov_b32_e32 v20, v41
	v_add_u32_e32 v56, 19, v22
	v_bfi_b32 v27, v27, 0, v19
	v_lshlrev_b64 v[56:57], v56, 1
	v_lshrrev_b64 v[19:20], v22, v[19:20]
	v_bfi_b32 v28, v28, 0, 0
	v_cmp_eq_u64_e64 s[20:21], v[27:28], v[56:57]
	v_mov_b32_e32 v28, v20
	v_mov_b32_e32 v27, v19
	s_and_saveexec_b64 s[88:89], s[20:21]
; %bb.420:                              ;   in Loop: Header=BB2_108 Depth=3
	v_bfe_u32 v20, v19, 20, 1
	v_add_co_u32_e64 v20, s[20:21], v19, v20
	v_add_co_u32_e64 v27, s[20:21], -1, v20
; %bb.421:                              ;   in Loop: Header=BB2_108 Depth=3
	s_or_b64 exec, exec, s[88:89]
	v_add_u32_e32 v17, 0xffffff81, v17
	v_cndmask_b32_e32 v17, v17, v8, vcc
	v_lshrrev_b32_e32 v20, 23, v19
	v_add3_u32 v28, v22, v17, v20
	v_add_u32_e32 v22, 6, v28
	v_and_b32_e32 v17, 0xfffff, v27
	v_add_u32_e32 v19, v17, v19
	v_mov_b32_e32 v20, v41
	v_cmp_ne_u32_e32 vcc, 0, v22
                                        ; implicit-def: $vgpr17
	s_and_saveexec_b64 s[20:21], vcc
	s_xor_b64 s[20:21], exec, s[20:21]
; %bb.422:                              ;   in Loop: Header=BB2_108 Depth=3
	v_cmp_lt_u64_e32 vcc, s[60:61], v[19:20]
	v_add_u32_e32 v17, 7, v28
	v_cndmask_b32_e32 v17, v22, v17, vcc
	v_cndmask_b32_e64 v22, 0, 1, vcc
	v_lshrrev_b64 v[19:20], v22, v[19:20]
; %bb.423:                              ;   in Loop: Header=BB2_108 Depth=3
	s_andn2_saveexec_b64 s[20:21], s[20:21]
; %bb.424:                              ;   in Loop: Header=BB2_108 Depth=3
	v_bfe_u32 v17, v19, 23, 1
; %bb.425:                              ;   in Loop: Header=BB2_108 Depth=3
	s_or_b64 exec, exec, s[20:21]
	v_lshrrev_b64 v[19:20], 20, v[19:20]
	v_cmp_gt_i32_e32 vcc, 16, v17
	v_cndmask_b32_e32 v20, 0, v20, vcc
	v_cndmask_b32_e32 v19, 7, v19, vcc
	v_cmp_eq_u32_e32 vcc, 0, v17
	v_min_i32_e32 v17, 15, v17
	v_cmp_eq_u64_e64 s[20:21], 0, v[19:20]
	v_lshlrev_b32_e32 v17, 3, v17
	v_and_b32_e32 v17, 0xf8, v17
	v_and_or_b32 v17, v19, 7, v17
	s_and_b64 s[20:21], vcc, s[20:21]
	v_cndmask_b32_e64 v17, v17, 0, s[20:21]
	v_or_b32_e32 v27, v17, v0
.LBB2_426:                              ;   in Loop: Header=BB2_108 Depth=3
	s_or_b64 exec, exec, s[78:79]
                                        ; implicit-def: $vgpr0
.LBB2_427:                              ;   in Loop: Header=BB2_108 Depth=3
	s_andn2_saveexec_b64 s[20:21], s[76:77]
; %bb.428:                              ;   in Loop: Header=BB2_108 Depth=3
	v_or_b32_e32 v27, 0x7e, v0
; %bb.429:                              ;   in Loop: Header=BB2_108 Depth=3
	s_or_b64 exec, exec, s[20:21]
                                        ; implicit-def: $vgpr19
.LBB2_430:                              ;   in Loop: Header=BB2_108 Depth=3
	s_andn2_saveexec_b64 s[20:21], s[74:75]
; %bb.431:                              ;   in Loop: Header=BB2_108 Depth=3
	v_or_b32_sdwa v27, v19, s39 dst_sel:DWORD dst_unused:UNUSED_PAD src0_sel:BYTE_3 src1_sel:DWORD
; %bb.432:                              ;   in Loop: Header=BB2_108 Depth=3
	s_or_b64 exec, exec, s[20:21]
	v_and_b32_e32 v19, 0xff000000, v21
	v_mov_b32_e32 v20, v41
	v_cmp_ne_u64_e32 vcc, 0, v[19:20]
	v_lshrrev_b32_e32 v17, 24, v21
	v_lshrrev_b32_e32 v0, 24, v40
                                        ; implicit-def: $vgpr19
	s_and_saveexec_b64 s[20:21], s[14:15]
	s_xor_b64 s[74:75], exec, s[20:21]
	s_cbranch_execz .LBB2_446
; %bb.433:                              ;   in Loop: Header=BB2_108 Depth=3
	v_mov_b32_e32 v20, 0
	v_mov_b32_e32 v19, 0
	s_and_saveexec_b64 s[76:77], vcc
	s_cbranch_execz .LBB2_439
; %bb.434:                              ;   in Loop: Header=BB2_108 Depth=3
	v_cmp_ne_u32_e64 s[20:21], s38, v17
	v_bfrev_b32_e32 v19, 1
	s_and_saveexec_b64 s[78:79], s[20:21]
	s_cbranch_execz .LBB2_438
; %bb.435:                              ;   in Loop: Header=BB2_108 Depth=3
	v_bfe_u32 v21, v21, 24, 7
	v_cmp_ne_u32_e64 s[20:21], s39, v21
	v_mov_b32_e32 v19, 0x7f800001
	s_and_saveexec_b64 s[88:89], s[20:21]
	s_cbranch_execz .LBB2_437
; %bb.436:                              ;   in Loop: Header=BB2_108 Depth=3
	v_and_b32_e32 v19, 7, v17
	v_lshrrev_b32_e32 v28, 3, v21
	v_cmp_gt_u32_e64 s[20:21], 8, v21
	v_ffbh_u32_e32 v21, v19
	v_min_u32_e32 v56, 32, v21
	v_subrev_u32_e32 v21, 28, v56
	v_lshlrev_b64 v[21:22], v21, v[17:18]
	v_sub_u32_e32 v22, 29, v56
	v_and_b32_e32 v21, 7, v21
	v_cndmask_b32_e64 v22, v28, v22, s[20:21]
	v_cndmask_b32_e64 v19, v19, v21, s[20:21]
	v_lshlrev_b32_e32 v17, 24, v17
	v_lshlrev_b32_e32 v19, 20, v19
	v_and_b32_e32 v17, 0x80000000, v17
	v_lshl_add_u32 v21, v22, 23, v26
	v_or3_b32 v19, v17, v21, v19
.LBB2_437:                              ;   in Loop: Header=BB2_108 Depth=3
	s_or_b64 exec, exec, s[88:89]
.LBB2_438:                              ;   in Loop: Header=BB2_108 Depth=3
	s_or_b64 exec, exec, s[78:79]
.LBB2_439:                              ;   in Loop: Header=BB2_108 Depth=3
	s_or_b64 exec, exec, s[76:77]
	v_cmp_lt_u32_e64 s[20:21], s49, v40
	s_and_saveexec_b64 s[76:77], s[20:21]
	s_cbranch_execz .LBB2_445
; %bb.440:                              ;   in Loop: Header=BB2_108 Depth=3
	v_cmp_ne_u32_sdwa s[20:21], v40, s38 src0_sel:BYTE_3 src1_sel:DWORD
	v_bfrev_b32_e32 v20, 1
	s_and_saveexec_b64 s[78:79], s[20:21]
	s_cbranch_execz .LBB2_444
; %bb.441:                              ;   in Loop: Header=BB2_108 Depth=3
	v_bfe_u32 v17, v40, 24, 7
	v_cmp_ne_u32_e64 s[20:21], s39, v17
	v_mov_b32_e32 v20, 0x7f800001
	s_and_saveexec_b64 s[88:89], s[20:21]
	s_cbranch_execz .LBB2_443
; %bb.442:                              ;   in Loop: Header=BB2_108 Depth=3
	v_and_b32_e32 v22, 7, v0
	v_lshrrev_b32_e32 v28, 3, v17
	v_cmp_gt_u32_e64 s[20:21], 8, v17
	v_ffbh_u32_e32 v17, v22
	v_min_u32_e32 v17, 32, v17
	v_subrev_u32_e32 v20, 28, v17
	v_lshlrev_b64 v[20:21], v20, v[0:1]
	v_sub_u32_e32 v0, 29, v17
	v_and_b32_e32 v17, 7, v20
	v_cndmask_b32_e64 v0, v28, v0, s[20:21]
	v_cndmask_b32_e64 v17, v22, v17, s[20:21]
	v_lshlrev_b32_sdwa v20, v54, v40 dst_sel:DWORD dst_unused:UNUSED_PAD src0_sel:DWORD src1_sel:BYTE_3
	v_lshlrev_b32_e32 v17, 20, v17
	v_and_b32_e32 v20, 0x80000000, v20
	v_lshl_add_u32 v0, v0, 23, v26
	v_or3_b32 v20, v20, v0, v17
.LBB2_443:                              ;   in Loop: Header=BB2_108 Depth=3
	s_or_b64 exec, exec, s[88:89]
.LBB2_444:                              ;   in Loop: Header=BB2_108 Depth=3
	s_or_b64 exec, exec, s[78:79]
.LBB2_445:                              ;   in Loop: Header=BB2_108 Depth=3
	s_or_b64 exec, exec, s[76:77]
	v_max_f32_e32 v0, v20, v20
	v_max_f32_e32 v17, v19, v19
	;; [unrolled: 1-line block ×3, first 2 shown]
                                        ; implicit-def: $vgpr17
                                        ; implicit-def: $vgpr0
                                        ; implicit-def: $vgpr21_vgpr22
.LBB2_446:                              ;   in Loop: Header=BB2_108 Depth=3
	s_andn2_saveexec_b64 s[20:21], s[74:75]
	s_cbranch_execz .LBB2_460
; %bb.447:                              ;   in Loop: Header=BB2_108 Depth=3
	v_mov_b32_e32 v20, 0
	v_mov_b32_e32 v19, 0
	s_and_saveexec_b64 s[74:75], vcc
	s_cbranch_execz .LBB2_453
; %bb.448:                              ;   in Loop: Header=BB2_108 Depth=3
	v_cmp_ne_u32_e32 vcc, s38, v17
	v_bfrev_b32_e32 v19, 1
	s_and_saveexec_b64 s[76:77], vcc
	s_cbranch_execz .LBB2_452
; %bb.449:                              ;   in Loop: Header=BB2_108 Depth=3
	v_bfe_u32 v21, v21, 24, 7
	v_cmp_ne_u32_e32 vcc, s39, v21
	v_mov_b32_e32 v19, 0x7f800001
	s_and_saveexec_b64 s[78:79], vcc
	s_cbranch_execz .LBB2_451
; %bb.450:                              ;   in Loop: Header=BB2_108 Depth=3
	v_and_b32_e32 v19, 7, v17
	v_lshrrev_b32_e32 v28, 3, v21
	v_cmp_gt_u32_e32 vcc, 8, v21
	v_ffbh_u32_e32 v21, v19
	v_min_u32_e32 v56, 32, v21
	v_subrev_u32_e32 v21, 28, v56
	v_lshlrev_b64 v[21:22], v21, v[17:18]
	v_sub_u32_e32 v22, 29, v56
	v_and_b32_e32 v21, 7, v21
	v_cndmask_b32_e32 v22, v28, v22, vcc
	v_cndmask_b32_e32 v19, v19, v21, vcc
	v_lshlrev_b32_e32 v17, 24, v17
	v_lshlrev_b32_e32 v19, 20, v19
	v_and_b32_e32 v17, 0x80000000, v17
	v_lshl_add_u32 v21, v22, 23, v26
	v_or3_b32 v19, v17, v21, v19
.LBB2_451:                              ;   in Loop: Header=BB2_108 Depth=3
	s_or_b64 exec, exec, s[78:79]
.LBB2_452:                              ;   in Loop: Header=BB2_108 Depth=3
	s_or_b64 exec, exec, s[76:77]
.LBB2_453:                              ;   in Loop: Header=BB2_108 Depth=3
	s_or_b64 exec, exec, s[74:75]
	v_cmp_lt_u32_e32 vcc, s49, v40
	s_and_saveexec_b64 s[74:75], vcc
	s_cbranch_execz .LBB2_459
; %bb.454:                              ;   in Loop: Header=BB2_108 Depth=3
	v_cmp_ne_u32_sdwa s[78:79], v40, s38 src0_sel:BYTE_3 src1_sel:DWORD
	v_bfrev_b32_e32 v20, 1
	s_and_saveexec_b64 s[76:77], s[78:79]
	s_cbranch_execz .LBB2_458
; %bb.455:                              ;   in Loop: Header=BB2_108 Depth=3
	v_bfe_u32 v17, v40, 24, 7
	v_cmp_ne_u32_e32 vcc, s39, v17
	v_mov_b32_e32 v20, 0x7f800001
	s_and_saveexec_b64 s[78:79], vcc
	s_cbranch_execz .LBB2_457
; %bb.456:                              ;   in Loop: Header=BB2_108 Depth=3
	v_and_b32_e32 v22, 7, v0
	v_lshrrev_b32_e32 v28, 3, v17
	v_cmp_gt_u32_e32 vcc, 8, v17
	v_ffbh_u32_e32 v17, v22
	v_min_u32_e32 v17, 32, v17
	v_subrev_u32_e32 v20, 28, v17
	v_lshlrev_b64 v[20:21], v20, v[0:1]
	v_sub_u32_e32 v0, 29, v17
	v_and_b32_e32 v17, 7, v20
	v_cndmask_b32_e32 v0, v28, v0, vcc
	v_cndmask_b32_e32 v17, v22, v17, vcc
	v_lshlrev_b32_sdwa v20, v54, v40 dst_sel:DWORD dst_unused:UNUSED_PAD src0_sel:DWORD src1_sel:BYTE_3
	v_lshlrev_b32_e32 v17, 20, v17
	v_and_b32_e32 v20, 0x80000000, v20
	v_lshl_add_u32 v0, v0, 23, v26
	v_or3_b32 v20, v20, v0, v17
.LBB2_457:                              ;   in Loop: Header=BB2_108 Depth=3
	s_or_b64 exec, exec, s[78:79]
.LBB2_458:                              ;   in Loop: Header=BB2_108 Depth=3
	s_or_b64 exec, exec, s[76:77]
.LBB2_459:                              ;   in Loop: Header=BB2_108 Depth=3
	s_or_b64 exec, exec, s[74:75]
	v_max_f32_e32 v0, v20, v20
	v_max_f32_e32 v17, v19, v19
	v_min_f32_e32 v19, v17, v0
.LBB2_460:                              ;   in Loop: Header=BB2_108 Depth=3
	s_or_b64 exec, exec, s[20:21]
	v_and_b32_e32 v40, 0x7f800000, v19
	v_cmp_ne_u64_e32 vcc, s[56:57], v[40:41]
                                        ; implicit-def: $vgpr17
	s_and_saveexec_b64 s[20:21], vcc
	s_xor_b64 s[74:75], exec, s[20:21]
	s_cbranch_execz .LBB2_474
; %bb.461:                              ;   in Loop: Header=BB2_108 Depth=3
	v_and_b32_e32 v40, 0x7fffffff, v19
	v_cmp_gt_u64_e32 vcc, s[58:59], v[40:41]
	v_and_b32_sdwa v0, v19, s38 dst_sel:DWORD dst_unused:UNUSED_PAD src0_sel:BYTE_3 src1_sel:DWORD
                                        ; implicit-def: $vgpr17
	s_and_saveexec_b64 s[20:21], vcc
	s_xor_b64 s[76:77], exec, s[20:21]
	s_cbranch_execz .LBB2_471
; %bb.462:                              ;   in Loop: Header=BB2_108 Depth=3
	v_mov_b32_e32 v17, 0
	v_cmp_ne_u32_e32 vcc, 0, v19
	s_and_saveexec_b64 s[78:79], vcc
	s_cbranch_execz .LBB2_470
; %bb.463:                              ;   in Loop: Header=BB2_108 Depth=3
	v_bfe_u32 v17, v19, 23, 8
	v_and_b32_e32 v20, 0x7fffff, v19
	v_cmp_gt_u32_e64 s[20:21], s48, v17
	v_sub_u32_e32 v19, 0x79, v17
	v_cmp_eq_u32_e32 vcc, 0, v17
	v_cndmask_b32_e64 v19, 0, v19, s[20:21]
	v_cndmask_b32_e32 v22, v19, v7, vcc
	v_or_b32_e32 v21, 0x800000, v20
	v_add_u32_e32 v19, 20, v22
	v_cndmask_b32_e32 v40, v21, v20, vcc
	v_lshlrev_b64 v[19:20], v19, -1
	v_add_u32_e32 v21, 19, v22
	v_lshlrev_b64 v[56:57], v21, 1
	v_bfi_b32 v20, v20, 0, 0
	v_bfi_b32 v19, v19, 0, v40
	v_cmp_eq_u64_e64 s[20:21], v[19:20], v[56:57]
	v_lshrrev_b64 v[19:20], v22, v[40:41]
	v_mov_b32_e32 v21, v20
	v_mov_b32_e32 v20, v19
	s_and_saveexec_b64 s[88:89], s[20:21]
; %bb.464:                              ;   in Loop: Header=BB2_108 Depth=3
	v_bfe_u32 v20, v19, 20, 1
	v_add_co_u32_e64 v20, s[20:21], v19, v20
	v_add_co_u32_e64 v20, s[20:21], -1, v20
; %bb.465:                              ;   in Loop: Header=BB2_108 Depth=3
	s_or_b64 exec, exec, s[88:89]
	v_add_u32_e32 v17, 0xffffff81, v17
	v_cndmask_b32_e32 v17, v17, v8, vcc
	v_lshrrev_b32_e32 v21, 23, v19
	v_add3_u32 v22, v22, v17, v21
	v_add_u32_e32 v21, 6, v22
	v_and_b32_e32 v17, 0xfffff, v20
	v_add_u32_e32 v40, v17, v19
	v_cmp_ne_u32_e32 vcc, 0, v21
                                        ; implicit-def: $vgpr19_vgpr20
                                        ; implicit-def: $vgpr17
	s_and_saveexec_b64 s[20:21], vcc
	s_xor_b64 s[20:21], exec, s[20:21]
; %bb.466:                              ;   in Loop: Header=BB2_108 Depth=3
	v_cmp_lt_u64_e32 vcc, s[60:61], v[40:41]
	v_add_u32_e32 v17, 7, v22
	v_cndmask_b32_e64 v19, 0, 1, vcc
	v_cndmask_b32_e32 v17, v21, v17, vcc
	v_lshrrev_b64 v[19:20], v19, v[40:41]
; %bb.467:                              ;   in Loop: Header=BB2_108 Depth=3
	s_andn2_saveexec_b64 s[20:21], s[20:21]
; %bb.468:                              ;   in Loop: Header=BB2_108 Depth=3
	v_mov_b32_e32 v19, v40
	v_bfe_u32 v17, v40, 23, 1
	v_mov_b32_e32 v20, v41
; %bb.469:                              ;   in Loop: Header=BB2_108 Depth=3
	s_or_b64 exec, exec, s[20:21]
	v_lshrrev_b64 v[19:20], 20, v[19:20]
	v_cmp_gt_i32_e32 vcc, 16, v17
	v_cndmask_b32_e32 v20, 0, v20, vcc
	v_cndmask_b32_e32 v19, 7, v19, vcc
	v_cmp_eq_u32_e32 vcc, 0, v17
	v_min_i32_e32 v17, 15, v17
	v_cmp_eq_u64_e64 s[20:21], 0, v[19:20]
	v_lshlrev_b32_e32 v17, 3, v17
	v_and_b32_e32 v17, 0xf8, v17
	v_and_or_b32 v17, v19, 7, v17
	s_and_b64 s[20:21], vcc, s[20:21]
	v_cndmask_b32_e64 v17, v17, 0, s[20:21]
	v_or_b32_e32 v17, v17, v0
.LBB2_470:                              ;   in Loop: Header=BB2_108 Depth=3
	s_or_b64 exec, exec, s[78:79]
                                        ; implicit-def: $vgpr0
.LBB2_471:                              ;   in Loop: Header=BB2_108 Depth=3
	s_andn2_saveexec_b64 s[20:21], s[76:77]
; %bb.472:                              ;   in Loop: Header=BB2_108 Depth=3
	v_or_b32_e32 v17, 0x7e, v0
; %bb.473:                              ;   in Loop: Header=BB2_108 Depth=3
	s_or_b64 exec, exec, s[20:21]
                                        ; implicit-def: $vgpr19
.LBB2_474:                              ;   in Loop: Header=BB2_108 Depth=3
	s_andn2_saveexec_b64 s[20:21], s[74:75]
	s_cbranch_execz .LBB2_107
; %bb.475:                              ;   in Loop: Header=BB2_108 Depth=3
	v_or_b32_sdwa v17, v19, s39 dst_sel:DWORD dst_unused:UNUSED_PAD src0_sel:BYTE_3 src1_sel:DWORD
	s_branch .LBB2_107
.LBB2_476:                              ;   in Loop: Header=BB2_70 Depth=2
	s_or_b64 exec, exec, s[62:63]
	s_and_saveexec_b64 s[20:21], s[10:11]
	s_cbranch_execz .LBB2_489
.LBB2_477:                              ;   in Loop: Header=BB2_70 Depth=2
	s_and_saveexec_b64 s[62:63], s[42:43]
	s_xor_b64 s[62:63], exec, s[62:63]
	s_cbranch_execz .LBB2_498
; %bb.478:                              ;   in Loop: Header=BB2_70 Depth=2
	s_and_saveexec_b64 s[72:73], s[12:13]
	s_cbranch_execz .LBB2_497
; %bb.479:                              ;   in Loop: Header=BB2_70 Depth=2
	s_mov_b64 s[76:77], exec
	s_waitcnt vmcnt(0) lgkmcnt(0)
	v_mbcnt_lo_u32_b32 v0, s76, 0
	v_mbcnt_hi_u32_b32 v0, s77, v0
	v_cmp_eq_u32_e32 vcc, 0, v0
	buffer_wbinvl1_vol
	s_and_saveexec_b64 s[74:75], vcc
	s_cbranch_execz .LBB2_481
; %bb.480:                              ;   in Loop: Header=BB2_70 Depth=2
	s_bcnt1_i32_b64 s28, s[76:77]
	v_mov_b32_e32 v40, s28
	ds_add_u64 v0, v[40:41]
	s_trap 2
.LBB2_481:                              ;   in Loop: Header=BB2_70 Depth=2
	s_or_b64 exec, exec, s[74:75]
	s_trap 2
	ds_read_b64 v[9:10], v0
	s_waitcnt lgkmcnt(0)
	buffer_load_dword v0, off, s[0:3], s32 offset:96 ; 4-byte Folded Reload
	s_waitcnt vmcnt(0)
	v_add_co_u32_e32 v2, vcc, v2, v0
	v_addc_co_u32_e32 v3, vcc, 0, v3, vcc
	v_cmp_lt_u64_e32 vcc, v[9:10], v[2:3]
	s_and_saveexec_b64 s[74:75], vcc
	s_cbranch_execz .LBB2_496
; %bb.482:                              ;   in Loop: Header=BB2_70 Depth=2
	s_mov_b32 s28, 0
	s_mov_b64 s[76:77], 0
                                        ; implicit-def: $sgpr78_sgpr79
                                        ; implicit-def: $sgpr88_sgpr89
	s_branch .LBB2_484
.LBB2_483:                              ;   in Loop: Header=BB2_484 Depth=3
	s_or_b64 exec, exec, s[92:93]
	s_and_b64 s[90:91], exec, s[94:95]
	s_or_b64 s[76:77], s[90:91], s[76:77]
	s_andn2_b64 s[78:79], s[78:79], exec
	s_and_b64 s[90:91], s[88:89], exec
	s_or_b64 s[78:79], s[78:79], s[90:91]
	s_andn2_b64 exec, exec, s[76:77]
	s_cbranch_execz .LBB2_494
.LBB2_484:                              ;   Parent Loop BB2_21 Depth=1
                                        ;     Parent Loop BB2_70 Depth=2
                                        ; =>    This Inner Loop Header: Depth=3
	s_add_i32 s28, s28, 1
	s_cmpk_lg_i32 s28, 0x2710
	s_cselect_b64 s[90:91], -1, 0
	s_and_b64 vcc, exec, s[90:91]
	s_cbranch_vccz .LBB2_486
; %bb.485:                              ;   in Loop: Header=BB2_484 Depth=3
	s_mov_b64 s[94:95], -1
	s_or_b64 s[88:89], s[88:89], exec
	s_and_saveexec_b64 s[92:93], s[90:91]
	s_cbranch_execz .LBB2_483
	s_branch .LBB2_487
.LBB2_486:                              ;   in Loop: Header=BB2_484 Depth=3
	s_trap 2
	ds_read_b64 v[9:10], v0
	s_andn2_b64 s[90:91], s[90:91], exec
	s_mov_b32 s28, 0
	s_waitcnt lgkmcnt(0)
	flat_load_dword v0, v[9:10] glc
	s_waitcnt vmcnt(0) lgkmcnt(0)
	buffer_wbinvl1_vol
	v_cmp_eq_u32_e32 vcc, 0, v0
	s_and_b64 s[92:93], vcc, exec
	s_or_b64 s[90:91], s[90:91], s[92:93]
	s_mov_b64 s[94:95], -1
	s_or_b64 s[88:89], s[88:89], exec
	s_and_saveexec_b64 s[92:93], s[90:91]
	s_cbranch_execz .LBB2_483
.LBB2_487:                              ;   in Loop: Header=BB2_484 Depth=3
	s_sleep 1
	s_trap 2
	ds_read_b64 v[9:10], v0
	s_waitcnt lgkmcnt(0)
	s_andn2_b64 s[88:89], s[88:89], exec
	v_cmp_ge_u64_e32 vcc, v[9:10], v[2:3]
	s_orn2_b64 s[94:95], vcc, exec
	s_branch .LBB2_483
.LBB2_488:                              ;   in Loop: Header=BB2_70 Depth=2
	s_or_b64 exec, exec, s[72:73]
	s_or_b64 exec, exec, s[62:63]
	s_and_saveexec_b64 s[20:21], s[10:11]
	s_cbranch_execnz .LBB2_477
.LBB2_489:                              ;   in Loop: Header=BB2_70 Depth=2
	s_or_b64 exec, exec, s[20:21]
	s_and_saveexec_b64 s[20:21], s[16:17]
	s_cbranch_execz .LBB2_491
.LBB2_490:                              ;   in Loop: Header=BB2_70 Depth=2
	buffer_load_dword v9, off, s[0:3], s32 offset:68 ; 4-byte Folded Reload
	buffer_load_dword v10, off, s[0:3], s32 offset:72 ; 4-byte Folded Reload
	v_add_co_u32_e32 v38, vcc, 1, v38
	v_addc_co_u32_e32 v39, vcc, 0, v39, vcc
	s_waitcnt vmcnt(0)
	flat_store_dwordx2 v[9:10], v[38:39]
.LBB2_491:                              ;   in Loop: Header=BB2_70 Depth=2
	s_or_b64 exec, exec, s[20:21]
	v_and_b32_e32 v40, 0x7ffffff8, v46
	v_cmp_eq_u64_e32 vcc, s[46:47], v[40:41]
	v_cmp_gt_i32_e64 s[20:21], s36, v58
	s_and_b64 s[20:21], vcc, s[20:21]
	s_and_saveexec_b64 s[62:63], s[20:21]
	s_cbranch_execz .LBB2_69
; %bb.492:                              ;   in Loop: Header=BB2_70 Depth=2
	s_waitcnt vmcnt(0) lgkmcnt(0)
	v_and_b32_e32 v0, 7, v49
	v_mul_lo_u32 v9, s36, v0
	v_ashrrev_i32_e32 v59, 31, v58
	v_lshlrev_b64 v[19:20], 4, v[58:59]
	v_mov_b32_e32 v17, v41
	v_ashrrev_i32_e32 v10, 31, v9
	v_lshlrev_b64 v[9:10], 4, v[9:10]
	s_mov_b64 s[72:73], 0
	v_add_co_u32_e32 v0, vcc, v19, v9
	v_addc_co_u32_e32 v9, vcc, v20, v10, vcc
	v_add_co_u32_e32 v21, vcc, v36, v0
	v_addc_co_u32_e32 v22, vcc, v37, v9, vcc
.LBB2_493:                              ;   Parent Loop BB2_21 Depth=1
                                        ;     Parent Loop BB2_70 Depth=2
                                        ; =>    This Inner Loop Header: Depth=3
	v_mov_b32_e32 v19, v17
	v_mov_b32_e32 v20, v18
	v_add_u32_e32 v58, v58, v1
	global_store_dwordx4 v[21:22], v[17:20], off
	v_add_co_u32_e32 v21, vcc, v21, v5
	v_cmp_le_i32_e64 s[20:21], s36, v58
	s_or_b64 s[72:73], s[20:21], s[72:73]
	v_addc_co_u32_e32 v22, vcc, v22, v6, vcc
	s_andn2_b64 exec, exec, s[72:73]
	s_cbranch_execnz .LBB2_493
	s_branch .LBB2_69
.LBB2_494:                              ;   in Loop: Header=BB2_70 Depth=2
	s_or_b64 exec, exec, s[76:77]
	s_and_saveexec_b64 s[76:77], s[78:79]
	s_xor_b64 s[76:77], exec, s[76:77]
	s_cbranch_execz .LBB2_496
; %bb.495:                              ;   in Loop: Header=BB2_70 Depth=2
	v_mov_b32_e32 v0, 1
	ds_write_b32 v0, v0
	s_trap 2
.LBB2_496:                              ;   in Loop: Header=BB2_70 Depth=2
	s_or_b64 exec, exec, s[74:75]
	;;#ASMSTART
	s_wakeup
	;;#ASMEND
.LBB2_497:                              ;   in Loop: Header=BB2_70 Depth=2
	s_or_b64 exec, exec, s[72:73]
.LBB2_498:                              ;   in Loop: Header=BB2_70 Depth=2
	s_andn2_saveexec_b64 s[62:63], s[62:63]
	s_cbranch_execz .LBB2_500
; %bb.499:                              ;   in Loop: Header=BB2_70 Depth=2
	s_waitcnt vmcnt(0) lgkmcnt(0)
	buffer_wbinvl1_vol
	s_barrier
.LBB2_500:                              ;   in Loop: Header=BB2_70 Depth=2
	s_or_b64 exec, exec, s[62:63]
	s_or_b64 exec, exec, s[20:21]
	s_and_saveexec_b64 s[20:21], s[16:17]
	s_cbranch_execnz .LBB2_490
	s_branch .LBB2_491
.LBB2_501:                              ;   in Loop: Header=BB2_21 Depth=1
	buffer_load_dword v48, off, s[0:3], s32 offset:152 ; 4-byte Folded Reload
	buffer_load_dword v49, off, s[0:3], s32 offset:156 ; 4-byte Folded Reload
.LBB2_502:                              ;   in Loop: Header=BB2_21 Depth=1
	v_mov_b32_e32 v21, v46
	v_mov_b32_e32 v22, v47
	buffer_load_dword v25, off, s[0:3], s32 offset:116 ; 4-byte Folded Reload
	buffer_load_dword v27, off, s[0:3], s32 offset:120 ; 4-byte Folded Reload
	s_and_saveexec_b64 s[20:21], s[18:19]
	s_cbranch_execz .LBB2_892
; %bb.503:                              ;   in Loop: Header=BB2_21 Depth=1
	s_waitcnt vmcnt(0) lgkmcnt(0)
	flat_load_dword v0, v[23:24]
	buffer_load_dword v17, off, s[0:3], s32 offset:168 ; 4-byte Folded Reload
	buffer_load_dword v18, off, s[0:3], s32 offset:172 ; 4-byte Folded Reload
	;; [unrolled: 1-line block ×6, first 2 shown]
	v_add_u32_e32 v58, 1, v34
	s_mov_b64 s[62:63], 0
	v_mov_b32_e32 v56, v4
	s_waitcnt vmcnt(0) lgkmcnt(0)
	v_ashrrev_i32_e32 v11, 31, v0
	v_mov_b32_e32 v9, v19
	v_mov_b32_e32 v10, v20
	v_add_co_u32_e32 v9, vcc, v9, v25
	v_addc_co_u32_e32 v10, vcc, v10, v27, vcc
	v_mul_lo_u32 v17, v17, v0
	v_mul_lo_u32 v11, v18, v11
	v_mad_u64_u32 v[9:10], s[18:19], v18, v0, v[9:10]
	v_add3_u32 v0, v17, v10, v11
	buffer_load_dword v10, off, s[0:3], s32 offset:124 ; 4-byte Folded Reload
	s_waitcnt vmcnt(0)
	v_add_co_u32_e32 v48, vcc, v9, v10
	v_addc_co_u32_e32 v49, vcc, 0, v0, vcc
	buffer_load_dword v0, off, s[0:3], s32 offset:192 ; 4-byte Folded Reload
	s_waitcnt vmcnt(0)
	v_add_co_u32_e32 v46, vcc, v0, v25
	buffer_load_dword v0, off, s[0:3], s32 offset:196 ; 4-byte Folded Reload
	buffer_load_dword v17, off, s[0:3], s32 offset:76 ; 4-byte Folded Reload
	;; [unrolled: 1-line block ×3, first 2 shown]
	s_waitcnt vmcnt(2)
	v_addc_co_u32_e32 v47, vcc, v0, v27, vcc
	v_and_b32_e32 v0, 7, v34
	v_mul_lo_u32 v9, v0, s36
	v_ashrrev_i32_e32 v10, 31, v9
	v_lshlrev_b64 v[9:10], 4, v[9:10]
	s_waitcnt vmcnt(1)
	v_add_co_u32_e32 v42, vcc, v17, v9
	s_waitcnt vmcnt(0)
	v_addc_co_u32_e32 v43, vcc, v18, v10, vcc
	s_branch .LBB2_505
.LBB2_504:                              ;   in Loop: Header=BB2_505 Depth=2
	v_add_co_u32_e32 v48, vcc, v48, v12
	v_addc_co_u32_e32 v49, vcc, 0, v49, vcc
	v_add_co_u32_e32 v46, vcc, v46, v12
	v_addc_co_u32_e32 v47, vcc, 0, v47, vcc
	v_sub_u32_e32 v32, v32, v12
	v_cmp_gt_i32_e32 vcc, 1, v32
	s_or_b64 s[62:63], vcc, s[62:63]
	v_add_u32_e32 v56, v56, v1
	s_andn2_b64 exec, exec, s[62:63]
	s_cbranch_execz .LBB2_891
.LBB2_505:                              ;   Parent Loop BB2_21 Depth=1
                                        ; =>  This Loop Header: Depth=2
                                        ;       Child Loop BB2_513 Depth 3
	v_and_b32_e32 v17, -4, v48
	v_mov_b32_e32 v18, v49
	global_load_dword v0, v[17:18], off glc slc
	v_min_u32_e32 v9, 8, v32
	v_and_b32_e32 v10, 3, v48
	v_add_u32_e32 v40, v10, v9
	v_cmp_lt_u32_e32 vcc, 4, v40
	v_mov_b32_e32 v25, 0
	v_mov_b32_e32 v31, 0
	s_and_saveexec_b64 s[18:19], vcc
	s_cbranch_execz .LBB2_507
; %bb.506:                              ;   in Loop: Header=BB2_505 Depth=2
	global_load_dword v31, v[17:18], off offset:4 glc slc
.LBB2_507:                              ;   in Loop: Header=BB2_505 Depth=2
	s_or_b64 exec, exec, s[18:19]
	v_cmp_lt_u64_e32 vcc, 8, v[40:41]
	s_and_saveexec_b64 s[18:19], vcc
	s_cbranch_execz .LBB2_509
; %bb.508:                              ;   in Loop: Header=BB2_505 Depth=2
	global_load_dword v25, v[17:18], off offset:8 glc slc
.LBB2_509:                              ;   in Loop: Header=BB2_505 Depth=2
	s_or_b64 exec, exec, s[18:19]
	v_mov_b32_e32 v57, v41
	v_lshlrev_b64 v[9:10], 4, v[56:57]
	v_add_co_u32_e32 v29, vcc, v42, v9
	v_addc_co_u32_e32 v30, vcc, v43, v10, vcc
	global_load_dwordx4 v[17:20], v[29:30], off glc slc
	v_cmp_eq_u32_e32 vcc, 0, v55
	v_mov_b32_e32 v55, 1
	s_and_saveexec_b64 s[72:73], vcc
	s_cbranch_execz .LBB2_521
; %bb.510:                              ;   in Loop: Header=BB2_505 Depth=2
	s_waitcnt vmcnt(0)
	v_cmp_ne_u32_e32 vcc, v58, v18
	v_cmp_ne_u32_e64 s[18:19], v58, v20
	s_or_b64 s[18:19], vcc, s[18:19]
	v_mov_b32_e32 v55, 0
	s_and_saveexec_b64 s[74:75], s[18:19]
	s_cbranch_execz .LBB2_520
; %bb.511:                              ;   in Loop: Header=BB2_505 Depth=2
	s_mov_b32 s28, 1
	s_mov_b64 s[78:79], 0
                                        ; implicit-def: $sgpr76_sgpr77
                                        ; implicit-def: $sgpr88_sgpr89
	s_branch .LBB2_513
.LBB2_512:                              ;   in Loop: Header=BB2_513 Depth=3
	s_or_b64 exec, exec, s[92:93]
	s_and_b64 s[18:19], exec, s[18:19]
	s_or_b64 s[78:79], s[18:19], s[78:79]
	s_andn2_b64 s[18:19], s[76:77], exec
	s_and_b64 s[76:77], s[88:89], exec
	s_or_b64 s[76:77], s[18:19], s[76:77]
	s_andn2_b64 exec, exec, s[78:79]
	s_cbranch_execz .LBB2_517
.LBB2_513:                              ;   Parent Loop BB2_21 Depth=1
                                        ;     Parent Loop BB2_505 Depth=2
                                        ; =>    This Inner Loop Header: Depth=3
	global_load_dwordx4 v[17:20], v[29:30], off glc slc
	s_add_i32 s28, s28, 1
	s_mov_b64 s[18:19], -1
	s_cmpk_lg_i32 s28, 0x2710
	s_mov_b64 s[90:91], -1
                                        ; implicit-def: $vgpr9
	s_cbranch_scc0 .LBB2_515
; %bb.514:                              ;   in Loop: Header=BB2_513 Depth=3
	s_or_b64 s[88:89], s[88:89], exec
	s_and_saveexec_b64 s[92:93], s[90:91]
	s_cbranch_execz .LBB2_512
	s_branch .LBB2_516
.LBB2_515:                              ;   in Loop: Header=BB2_513 Depth=3
	s_trap 2
	ds_read_b64 v[9:10], v0
	s_mov_b32 s28, 0
	s_waitcnt vmcnt(0) lgkmcnt(0)
	flat_load_dword v9, v[9:10] glc
	s_waitcnt vmcnt(0) lgkmcnt(0)
	buffer_wbinvl1_vol
	v_cmp_eq_u32_e32 vcc, 0, v9
	s_orn2_b64 s[90:91], vcc, exec
	s_or_b64 s[88:89], s[88:89], exec
	s_and_saveexec_b64 s[92:93], s[90:91]
	s_cbranch_execz .LBB2_512
.LBB2_516:                              ;   in Loop: Header=BB2_513 Depth=3
	s_waitcnt vmcnt(0)
	v_cmp_eq_u32_e32 vcc, v58, v18
	v_cmp_eq_u32_e64 s[18:19], v58, v20
	s_and_b64 s[18:19], vcc, s[18:19]
	s_andn2_b64 s[88:89], s[88:89], exec
	s_orn2_b64 s[18:19], s[18:19], exec
	s_branch .LBB2_512
.LBB2_517:                              ;   in Loop: Header=BB2_505 Depth=2
	s_or_b64 exec, exec, s[78:79]
	v_mov_b32_e32 v55, 0
	s_and_saveexec_b64 s[18:19], s[76:77]
	s_xor_b64 s[18:19], exec, s[18:19]
	s_cbranch_execz .LBB2_519
; %bb.518:                              ;   in Loop: Header=BB2_505 Depth=2
	v_mov_b32_e32 v55, 1
	ds_write_b32 v0, v9
	s_trap 2
.LBB2_519:                              ;   in Loop: Header=BB2_505 Depth=2
	s_or_b64 exec, exec, s[18:19]
.LBB2_520:                              ;   in Loop: Header=BB2_505 Depth=2
	s_or_b64 exec, exec, s[74:75]
.LBB2_521:                              ;   in Loop: Header=BB2_505 Depth=2
	s_or_b64 exec, exec, s[72:73]
	s_waitcnt vmcnt(0)
	v_lshlrev_b32_e32 v20, 3, v48
	v_alignbit_b32 v40, v31, v0, v20
	v_cmp_ne_u16_sdwa s[18:19], v17, v41 src0_sel:BYTE_0 src1_sel:DWORD
                                        ; implicit-def: $vgpr10
	s_and_saveexec_b64 s[72:73], s[14:15]
	s_xor_b64 s[72:73], exec, s[72:73]
	s_cbranch_execz .LBB2_535
; %bb.522:                              ;   in Loop: Header=BB2_505 Depth=2
	v_mov_b32_e32 v9, 0
	v_mov_b32_e32 v0, 0
	s_and_saveexec_b64 s[74:75], s[18:19]
	s_cbranch_execz .LBB2_528
; %bb.523:                              ;   in Loop: Header=BB2_505 Depth=2
	v_cmp_ne_u16_sdwa s[78:79], v17, s38 src0_sel:BYTE_0 src1_sel:DWORD
	v_bfrev_b32_e32 v0, 1
	s_and_saveexec_b64 s[76:77], s[78:79]
	s_cbranch_execz .LBB2_527
; %bb.524:                              ;   in Loop: Header=BB2_505 Depth=2
	v_and_b32_e32 v10, 0x7f, v17
	v_cmp_ne_u32_e32 vcc, s39, v10
	v_mov_b32_e32 v0, 0x7f800001
	s_and_saveexec_b64 s[78:79], vcc
	s_cbranch_execz .LBB2_526
; %bb.525:                              ;   in Loop: Header=BB2_505 Depth=2
	v_and_b32_e32 v0, 7, v17
	v_ffbh_u32_e32 v0, v0
	v_min_u32_e32 v0, 32, v0
	v_lshrrev_b32_e32 v11, 3, v10
	v_cmp_gt_u32_e32 vcc, 8, v10
	v_subrev_u32_e32 v10, 28, v0
	v_sub_u32_e32 v0, 29, v0
	v_cndmask_b32_e32 v10, 0, v10, vcc
	v_cndmask_b32_e32 v0, v11, v0, vcc
	v_lshlrev_b64 v[10:11], v10, v[17:18]
	v_lshlrev_b32_e32 v11, 24, v17
	v_lshlrev_b32_e32 v10, 20, v10
	v_and_b32_e32 v10, 0x700000, v10
	v_and_b32_e32 v11, 0x80000000, v11
	v_lshl_add_u32 v0, v0, 23, v26
	v_or3_b32 v0, v11, v0, v10
.LBB2_526:                              ;   in Loop: Header=BB2_505 Depth=2
	s_or_b64 exec, exec, s[78:79]
.LBB2_527:                              ;   in Loop: Header=BB2_505 Depth=2
	s_or_b64 exec, exec, s[76:77]
.LBB2_528:                              ;   in Loop: Header=BB2_505 Depth=2
	s_or_b64 exec, exec, s[74:75]
	v_cmp_ne_u16_sdwa s[76:77], v40, v41 src0_sel:BYTE_0 src1_sel:DWORD
	s_and_saveexec_b64 s[74:75], s[76:77]
	s_cbranch_execz .LBB2_534
; %bb.529:                              ;   in Loop: Header=BB2_505 Depth=2
	v_cmp_ne_u16_sdwa s[78:79], v40, s38 src0_sel:BYTE_0 src1_sel:DWORD
	v_bfrev_b32_e32 v9, 1
	s_and_saveexec_b64 s[76:77], s[78:79]
	s_cbranch_execz .LBB2_533
; %bb.530:                              ;   in Loop: Header=BB2_505 Depth=2
	v_and_b32_e32 v10, 0x7f, v40
	v_cmp_ne_u32_e32 vcc, s39, v10
	v_mov_b32_e32 v9, 0x7f800001
	s_and_saveexec_b64 s[78:79], vcc
	s_cbranch_execz .LBB2_532
; %bb.531:                              ;   in Loop: Header=BB2_505 Depth=2
	v_and_b32_e32 v9, 7, v40
	v_ffbh_u32_e32 v9, v9
	v_min_u32_e32 v9, 32, v9
	v_lshrrev_b32_e32 v11, 3, v10
	v_cmp_gt_u32_e32 vcc, 8, v10
	v_subrev_u32_e32 v10, 28, v9
	v_sub_u32_e32 v9, 29, v9
	v_cndmask_b32_e32 v11, v11, v9, vcc
	v_cndmask_b32_e32 v9, 0, v10, vcc
	v_lshlrev_b64 v[9:10], v9, v[40:41]
	v_lshlrev_b32_e32 v10, 24, v40
	v_lshlrev_b32_e32 v9, 20, v9
	v_and_b32_e32 v9, 0x700000, v9
	v_and_b32_e32 v10, 0x80000000, v10
	v_lshl_add_u32 v11, v11, 23, v26
	v_or3_b32 v9, v10, v11, v9
.LBB2_532:                              ;   in Loop: Header=BB2_505 Depth=2
	s_or_b64 exec, exec, s[78:79]
.LBB2_533:                              ;   in Loop: Header=BB2_505 Depth=2
	s_or_b64 exec, exec, s[76:77]
.LBB2_534:                              ;   in Loop: Header=BB2_505 Depth=2
	s_or_b64 exec, exec, s[74:75]
	v_max_f32_e32 v9, v9, v9
	v_max_f32_e32 v0, v0, v0
	;; [unrolled: 1-line block ×3, first 2 shown]
.LBB2_535:                              ;   in Loop: Header=BB2_505 Depth=2
	s_andn2_saveexec_b64 s[72:73], s[72:73]
	s_cbranch_execz .LBB2_549
; %bb.536:                              ;   in Loop: Header=BB2_505 Depth=2
	v_mov_b32_e32 v9, 0
	v_mov_b32_e32 v0, 0
	s_and_saveexec_b64 s[74:75], s[18:19]
	s_cbranch_execz .LBB2_542
; %bb.537:                              ;   in Loop: Header=BB2_505 Depth=2
	v_cmp_ne_u16_sdwa s[76:77], v17, s38 src0_sel:BYTE_0 src1_sel:DWORD
	v_bfrev_b32_e32 v0, 1
	s_and_saveexec_b64 s[18:19], s[76:77]
	s_cbranch_execz .LBB2_541
; %bb.538:                              ;   in Loop: Header=BB2_505 Depth=2
	v_and_b32_e32 v10, 0x7f, v17
	v_cmp_ne_u32_e32 vcc, s39, v10
	v_mov_b32_e32 v0, 0x7f800001
	s_and_saveexec_b64 s[76:77], vcc
	s_cbranch_execz .LBB2_540
; %bb.539:                              ;   in Loop: Header=BB2_505 Depth=2
	v_and_b32_e32 v0, 7, v17
	v_ffbh_u32_e32 v0, v0
	v_min_u32_e32 v0, 32, v0
	v_lshrrev_b32_e32 v11, 3, v10
	v_cmp_gt_u32_e32 vcc, 8, v10
	v_subrev_u32_e32 v10, 28, v0
	v_sub_u32_e32 v0, 29, v0
	v_cndmask_b32_e32 v10, 0, v10, vcc
	v_cndmask_b32_e32 v0, v11, v0, vcc
	v_lshlrev_b64 v[10:11], v10, v[17:18]
	v_lshlrev_b32_e32 v11, 24, v17
	v_lshlrev_b32_e32 v10, 20, v10
	v_and_b32_e32 v10, 0x700000, v10
	v_and_b32_e32 v11, 0x80000000, v11
	v_lshl_add_u32 v0, v0, 23, v26
	v_or3_b32 v0, v11, v0, v10
.LBB2_540:                              ;   in Loop: Header=BB2_505 Depth=2
	s_or_b64 exec, exec, s[76:77]
.LBB2_541:                              ;   in Loop: Header=BB2_505 Depth=2
	s_or_b64 exec, exec, s[18:19]
.LBB2_542:                              ;   in Loop: Header=BB2_505 Depth=2
	s_or_b64 exec, exec, s[74:75]
	v_cmp_ne_u16_sdwa s[74:75], v40, v41 src0_sel:BYTE_0 src1_sel:DWORD
	s_and_saveexec_b64 s[18:19], s[74:75]
	s_cbranch_execz .LBB2_548
; %bb.543:                              ;   in Loop: Header=BB2_505 Depth=2
	v_cmp_ne_u16_sdwa s[76:77], v40, s38 src0_sel:BYTE_0 src1_sel:DWORD
	v_bfrev_b32_e32 v9, 1
	s_and_saveexec_b64 s[74:75], s[76:77]
	s_cbranch_execz .LBB2_547
; %bb.544:                              ;   in Loop: Header=BB2_505 Depth=2
	v_and_b32_e32 v10, 0x7f, v40
	v_cmp_ne_u32_e32 vcc, s39, v10
	v_mov_b32_e32 v9, 0x7f800001
	s_and_saveexec_b64 s[76:77], vcc
	s_cbranch_execz .LBB2_546
; %bb.545:                              ;   in Loop: Header=BB2_505 Depth=2
	v_and_b32_e32 v9, 7, v40
	v_ffbh_u32_e32 v9, v9
	v_min_u32_e32 v9, 32, v9
	v_lshrrev_b32_e32 v11, 3, v10
	v_cmp_gt_u32_e32 vcc, 8, v10
	v_subrev_u32_e32 v10, 28, v9
	v_sub_u32_e32 v9, 29, v9
	v_cndmask_b32_e32 v11, v11, v9, vcc
	v_cndmask_b32_e32 v9, 0, v10, vcc
	v_lshlrev_b64 v[9:10], v9, v[40:41]
	v_lshlrev_b32_e32 v10, 24, v40
	v_lshlrev_b32_e32 v9, 20, v9
	v_and_b32_e32 v9, 0x700000, v9
	v_and_b32_e32 v10, 0x80000000, v10
	v_lshl_add_u32 v11, v11, 23, v26
	v_or3_b32 v9, v10, v11, v9
.LBB2_546:                              ;   in Loop: Header=BB2_505 Depth=2
	s_or_b64 exec, exec, s[76:77]
.LBB2_547:                              ;   in Loop: Header=BB2_505 Depth=2
	s_or_b64 exec, exec, s[74:75]
.LBB2_548:                              ;   in Loop: Header=BB2_505 Depth=2
	s_or_b64 exec, exec, s[18:19]
	v_max_f32_e32 v9, v9, v9
	v_max_f32_e32 v0, v0, v0
	v_min_f32_e32 v10, v0, v9
.LBB2_549:                              ;   in Loop: Header=BB2_505 Depth=2
	s_or_b64 exec, exec, s[72:73]
	v_and_b32_e32 v27, 0x7f800000, v10
	v_mov_b32_e32 v28, v41
	v_cmp_ne_u64_e32 vcc, s[56:57], v[27:28]
                                        ; implicit-def: $vgpr9
	s_and_saveexec_b64 s[18:19], vcc
	s_xor_b64 s[72:73], exec, s[18:19]
	s_cbranch_execz .LBB2_563
; %bb.550:                              ;   in Loop: Header=BB2_505 Depth=2
	v_and_b32_e32 v27, 0x7fffffff, v10
	v_mov_b32_e32 v28, v41
	v_cmp_gt_u64_e32 vcc, s[58:59], v[27:28]
	v_and_b32_sdwa v0, v10, s38 dst_sel:DWORD dst_unused:UNUSED_PAD src0_sel:BYTE_3 src1_sel:DWORD
                                        ; implicit-def: $vgpr9
	s_and_saveexec_b64 s[18:19], vcc
	s_xor_b64 s[74:75], exec, s[18:19]
	s_cbranch_execz .LBB2_560
; %bb.551:                              ;   in Loop: Header=BB2_505 Depth=2
	v_mov_b32_e32 v9, 0
	v_cmp_ne_u32_e32 vcc, 0, v10
	s_and_saveexec_b64 s[76:77], vcc
	s_cbranch_execz .LBB2_559
; %bb.552:                              ;   in Loop: Header=BB2_505 Depth=2
	v_bfe_u32 v9, v10, 23, 8
	v_and_b32_e32 v11, 0x7fffff, v10
	v_cmp_gt_u32_e64 s[18:19], s48, v9
	v_sub_u32_e32 v10, 0x79, v9
	v_cmp_eq_u32_e32 vcc, 0, v9
	v_cndmask_b32_e64 v10, 0, v10, s[18:19]
	v_or_b32_e32 v18, 0x800000, v11
	v_cndmask_b32_e32 v10, v10, v7, vcc
	v_cndmask_b32_e32 v27, v18, v11, vcc
	v_add_u32_e32 v11, 20, v10
	v_lshlrev_b64 v[29:30], v11, -1
	v_mov_b32_e32 v28, v41
	v_add_u32_e32 v11, 19, v10
	v_bfi_b32 v29, v29, 0, v27
	v_lshlrev_b64 v[44:45], v11, 1
	v_lshrrev_b64 v[27:28], v10, v[27:28]
	v_bfi_b32 v30, v30, 0, 0
	v_cmp_eq_u64_e64 s[18:19], v[29:30], v[44:45]
	v_mov_b32_e32 v29, v28
	v_mov_b32_e32 v28, v27
	s_and_saveexec_b64 s[78:79], s[18:19]
; %bb.553:                              ;   in Loop: Header=BB2_505 Depth=2
	v_bfe_u32 v11, v27, 20, 1
	v_add_co_u32_e64 v11, s[18:19], v27, v11
	v_add_co_u32_e64 v28, s[18:19], -1, v11
; %bb.554:                              ;   in Loop: Header=BB2_505 Depth=2
	s_or_b64 exec, exec, s[78:79]
	v_add_u32_e32 v9, 0xffffff81, v9
	v_cndmask_b32_e32 v9, v9, v8, vcc
	v_lshrrev_b32_e32 v11, 23, v27
	v_add3_u32 v11, v10, v9, v11
	v_add_u32_e32 v10, 6, v11
	v_and_b32_e32 v9, 0xfffff, v28
	v_add_u32_e32 v27, v9, v27
	v_mov_b32_e32 v28, v41
	v_cmp_ne_u32_e32 vcc, 0, v10
                                        ; implicit-def: $vgpr9
	s_and_saveexec_b64 s[18:19], vcc
	s_xor_b64 s[18:19], exec, s[18:19]
; %bb.555:                              ;   in Loop: Header=BB2_505 Depth=2
	v_cmp_lt_u64_e32 vcc, s[60:61], v[27:28]
	v_add_u32_e32 v9, 7, v11
	v_cndmask_b32_e32 v9, v10, v9, vcc
	v_cndmask_b32_e64 v10, 0, 1, vcc
	v_lshrrev_b64 v[27:28], v10, v[27:28]
; %bb.556:                              ;   in Loop: Header=BB2_505 Depth=2
	s_andn2_saveexec_b64 s[18:19], s[18:19]
; %bb.557:                              ;   in Loop: Header=BB2_505 Depth=2
	v_bfe_u32 v9, v27, 23, 1
; %bb.558:                              ;   in Loop: Header=BB2_505 Depth=2
	s_or_b64 exec, exec, s[18:19]
	v_lshrrev_b64 v[10:11], 20, v[27:28]
	v_cmp_gt_i32_e32 vcc, 16, v9
	v_cndmask_b32_e32 v11, 0, v11, vcc
	v_cndmask_b32_e32 v10, 7, v10, vcc
	v_cmp_eq_u32_e32 vcc, 0, v9
	v_min_i32_e32 v9, 15, v9
	v_cmp_eq_u64_e64 s[18:19], 0, v[10:11]
	v_lshlrev_b32_e32 v9, 3, v9
	v_and_b32_e32 v9, 0xf8, v9
	v_and_or_b32 v9, v10, 7, v9
	s_and_b64 s[18:19], vcc, s[18:19]
	v_cndmask_b32_e64 v9, v9, 0, s[18:19]
	v_or_b32_e32 v9, v9, v0
.LBB2_559:                              ;   in Loop: Header=BB2_505 Depth=2
	s_or_b64 exec, exec, s[76:77]
                                        ; implicit-def: $vgpr0
.LBB2_560:                              ;   in Loop: Header=BB2_505 Depth=2
	s_andn2_saveexec_b64 s[18:19], s[74:75]
; %bb.561:                              ;   in Loop: Header=BB2_505 Depth=2
	v_or_b32_e32 v9, 0x7e, v0
; %bb.562:                              ;   in Loop: Header=BB2_505 Depth=2
	s_or_b64 exec, exec, s[18:19]
                                        ; implicit-def: $vgpr10
.LBB2_563:                              ;   in Loop: Header=BB2_505 Depth=2
	s_andn2_saveexec_b64 s[18:19], s[72:73]
; %bb.564:                              ;   in Loop: Header=BB2_505 Depth=2
	v_or_b32_sdwa v9, v10, s39 dst_sel:DWORD dst_unused:UNUSED_PAD src0_sel:BYTE_3 src1_sel:DWORD
; %bb.565:                              ;   in Loop: Header=BB2_505 Depth=2
	s_or_b64 exec, exec, s[18:19]
	v_lshrrev_b16_e32 v18, 8, v17
	v_lshrrev_b16_e32 v0, 8, v40
	v_cmp_ne_u16_e32 vcc, 0, v18
                                        ; implicit-def: $vgpr11
	s_and_saveexec_b64 s[18:19], s[14:15]
	s_xor_b64 s[72:73], exec, s[18:19]
	s_cbranch_execz .LBB2_579
; %bb.566:                              ;   in Loop: Header=BB2_505 Depth=2
	v_mov_b32_e32 v11, 0
	v_mov_b32_e32 v10, 0
	s_and_saveexec_b64 s[74:75], vcc
	s_cbranch_execz .LBB2_572
; %bb.567:                              ;   in Loop: Header=BB2_505 Depth=2
	v_cmp_ne_u16_e64 s[18:19], s38, v18
	v_bfrev_b32_e32 v10, 1
	s_and_saveexec_b64 s[76:77], s[18:19]
	s_cbranch_execz .LBB2_571
; %bb.568:                              ;   in Loop: Header=BB2_505 Depth=2
	v_and_b32_e32 v27, 0x7f, v18
	v_cmp_ne_u32_e64 s[18:19], s39, v27
	v_mov_b32_e32 v10, 0x7f800001
	s_and_saveexec_b64 s[78:79], s[18:19]
	s_cbranch_execz .LBB2_570
; %bb.569:                              ;   in Loop: Header=BB2_505 Depth=2
	v_and_b32_e32 v10, 7, v18
	v_lshrrev_b32_e32 v29, 3, v27
	v_cmp_gt_u32_e64 s[18:19], 8, v27
	v_ffbh_u32_e32 v27, v10
	v_min_u32_e32 v30, 32, v27
	v_subrev_u32_e32 v27, 28, v30
	v_lshlrev_b64 v[27:28], v27, v[18:19]
	v_sub_u32_e32 v18, 29, v30
	v_and_b32_e32 v27, 7, v27
	v_cndmask_b32_e64 v18, v29, v18, s[18:19]
	v_cndmask_b32_e64 v10, v10, v27, s[18:19]
	v_lshlrev_b32_e32 v27, 16, v17
	v_lshlrev_b32_e32 v10, 20, v10
	v_and_b32_e32 v27, 0x80000000, v27
	v_lshl_add_u32 v18, v18, 23, v26
	v_or3_b32 v10, v27, v18, v10
.LBB2_570:                              ;   in Loop: Header=BB2_505 Depth=2
	s_or_b64 exec, exec, s[78:79]
.LBB2_571:                              ;   in Loop: Header=BB2_505 Depth=2
	s_or_b64 exec, exec, s[76:77]
.LBB2_572:                              ;   in Loop: Header=BB2_505 Depth=2
	s_or_b64 exec, exec, s[74:75]
	v_cmp_ne_u16_e64 s[18:19], 0, v0
	s_and_saveexec_b64 s[74:75], s[18:19]
	s_cbranch_execz .LBB2_578
; %bb.573:                              ;   in Loop: Header=BB2_505 Depth=2
	v_cmp_ne_u16_e64 s[18:19], s38, v0
	v_bfrev_b32_e32 v11, 1
	s_and_saveexec_b64 s[76:77], s[18:19]
	s_cbranch_execz .LBB2_577
; %bb.574:                              ;   in Loop: Header=BB2_505 Depth=2
	v_and_b32_e32 v18, 0x7f, v0
	v_cmp_ne_u32_e64 s[18:19], s39, v18
	v_mov_b32_e32 v11, 0x7f800001
	s_and_saveexec_b64 s[78:79], s[18:19]
	s_cbranch_execz .LBB2_576
; %bb.575:                              ;   in Loop: Header=BB2_505 Depth=2
	v_and_b32_e32 v11, 7, v0
	v_lshrrev_b32_e32 v29, 3, v18
	v_cmp_gt_u32_e64 s[18:19], 8, v18
	v_ffbh_u32_e32 v18, v11
	v_min_u32_e32 v18, 32, v18
	v_subrev_u32_e32 v27, 28, v18
	v_lshlrev_b64 v[27:28], v27, v[0:1]
	v_sub_u32_e32 v0, 29, v18
	v_and_b32_e32 v18, 7, v27
	v_cndmask_b32_e64 v0, v29, v0, s[18:19]
	v_cndmask_b32_e64 v11, v11, v18, s[18:19]
	v_lshlrev_b32_e32 v18, 16, v40
	v_lshlrev_b32_e32 v11, 20, v11
	v_and_b32_e32 v18, 0x80000000, v18
	v_lshl_add_u32 v0, v0, 23, v26
	v_or3_b32 v11, v18, v0, v11
.LBB2_576:                              ;   in Loop: Header=BB2_505 Depth=2
	s_or_b64 exec, exec, s[78:79]
.LBB2_577:                              ;   in Loop: Header=BB2_505 Depth=2
	s_or_b64 exec, exec, s[76:77]
.LBB2_578:                              ;   in Loop: Header=BB2_505 Depth=2
	s_or_b64 exec, exec, s[74:75]
	v_max_f32_e32 v0, v11, v11
	v_max_f32_e32 v10, v10, v10
	;; [unrolled: 1-line block ×3, first 2 shown]
                                        ; implicit-def: $vgpr0
                                        ; implicit-def: $vgpr18
.LBB2_579:                              ;   in Loop: Header=BB2_505 Depth=2
	s_andn2_saveexec_b64 s[18:19], s[72:73]
	s_cbranch_execz .LBB2_593
; %bb.580:                              ;   in Loop: Header=BB2_505 Depth=2
	v_mov_b32_e32 v11, 0
	v_mov_b32_e32 v10, 0
	s_and_saveexec_b64 s[72:73], vcc
	s_cbranch_execz .LBB2_586
; %bb.581:                              ;   in Loop: Header=BB2_505 Depth=2
	v_cmp_ne_u16_e32 vcc, s38, v18
	v_bfrev_b32_e32 v10, 1
	s_and_saveexec_b64 s[74:75], vcc
	s_cbranch_execz .LBB2_585
; %bb.582:                              ;   in Loop: Header=BB2_505 Depth=2
	v_and_b32_e32 v27, 0x7f, v18
	v_cmp_ne_u32_e32 vcc, s39, v27
	v_mov_b32_e32 v10, 0x7f800001
	s_and_saveexec_b64 s[76:77], vcc
	s_cbranch_execz .LBB2_584
; %bb.583:                              ;   in Loop: Header=BB2_505 Depth=2
	v_and_b32_e32 v10, 7, v18
	v_lshrrev_b32_e32 v29, 3, v27
	v_cmp_gt_u32_e32 vcc, 8, v27
	v_ffbh_u32_e32 v27, v10
	v_min_u32_e32 v30, 32, v27
	v_subrev_u32_e32 v27, 28, v30
	v_lshlrev_b64 v[27:28], v27, v[18:19]
	v_sub_u32_e32 v18, 29, v30
	v_and_b32_e32 v27, 7, v27
	v_cndmask_b32_e32 v18, v29, v18, vcc
	v_cndmask_b32_e32 v10, v10, v27, vcc
	v_lshlrev_b32_e32 v27, 16, v17
	v_lshlrev_b32_e32 v10, 20, v10
	v_and_b32_e32 v27, 0x80000000, v27
	v_lshl_add_u32 v18, v18, 23, v26
	v_or3_b32 v10, v27, v18, v10
.LBB2_584:                              ;   in Loop: Header=BB2_505 Depth=2
	s_or_b64 exec, exec, s[76:77]
.LBB2_585:                              ;   in Loop: Header=BB2_505 Depth=2
	s_or_b64 exec, exec, s[74:75]
.LBB2_586:                              ;   in Loop: Header=BB2_505 Depth=2
	s_or_b64 exec, exec, s[72:73]
	v_cmp_ne_u16_e32 vcc, 0, v0
	s_and_saveexec_b64 s[72:73], vcc
	s_cbranch_execz .LBB2_592
; %bb.587:                              ;   in Loop: Header=BB2_505 Depth=2
	v_cmp_ne_u16_e32 vcc, s38, v0
	v_bfrev_b32_e32 v11, 1
	s_and_saveexec_b64 s[74:75], vcc
	s_cbranch_execz .LBB2_591
; %bb.588:                              ;   in Loop: Header=BB2_505 Depth=2
	v_and_b32_e32 v18, 0x7f, v0
	v_cmp_ne_u32_e32 vcc, s39, v18
	v_mov_b32_e32 v11, 0x7f800001
	s_and_saveexec_b64 s[76:77], vcc
	s_cbranch_execz .LBB2_590
; %bb.589:                              ;   in Loop: Header=BB2_505 Depth=2
	v_and_b32_e32 v11, 7, v0
	v_lshrrev_b32_e32 v29, 3, v18
	v_cmp_gt_u32_e32 vcc, 8, v18
	v_ffbh_u32_e32 v18, v11
	v_min_u32_e32 v18, 32, v18
	v_subrev_u32_e32 v27, 28, v18
	v_lshlrev_b64 v[27:28], v27, v[0:1]
	v_sub_u32_e32 v0, 29, v18
	v_and_b32_e32 v18, 7, v27
	v_cndmask_b32_e32 v0, v29, v0, vcc
	v_cndmask_b32_e32 v11, v11, v18, vcc
	v_lshlrev_b32_e32 v18, 16, v40
	v_lshlrev_b32_e32 v11, 20, v11
	v_and_b32_e32 v18, 0x80000000, v18
	v_lshl_add_u32 v0, v0, 23, v26
	v_or3_b32 v11, v18, v0, v11
.LBB2_590:                              ;   in Loop: Header=BB2_505 Depth=2
	s_or_b64 exec, exec, s[76:77]
.LBB2_591:                              ;   in Loop: Header=BB2_505 Depth=2
	s_or_b64 exec, exec, s[74:75]
.LBB2_592:                              ;   in Loop: Header=BB2_505 Depth=2
	s_or_b64 exec, exec, s[72:73]
	v_max_f32_e32 v0, v11, v11
	v_max_f32_e32 v10, v10, v10
	v_min_f32_e32 v11, v10, v0
.LBB2_593:                              ;   in Loop: Header=BB2_505 Depth=2
	s_or_b64 exec, exec, s[18:19]
	v_and_b32_e32 v27, 0x7f800000, v11
	v_mov_b32_e32 v28, v41
	v_cmp_ne_u64_e32 vcc, s[56:57], v[27:28]
                                        ; implicit-def: $vgpr10
	s_and_saveexec_b64 s[18:19], vcc
	s_xor_b64 s[72:73], exec, s[18:19]
	s_cbranch_execz .LBB2_607
; %bb.594:                              ;   in Loop: Header=BB2_505 Depth=2
	v_and_b32_e32 v27, 0x7fffffff, v11
	v_mov_b32_e32 v28, v41
	v_cmp_gt_u64_e32 vcc, s[58:59], v[27:28]
	v_and_b32_sdwa v0, v11, s38 dst_sel:DWORD dst_unused:UNUSED_PAD src0_sel:BYTE_3 src1_sel:DWORD
                                        ; implicit-def: $vgpr10
	s_and_saveexec_b64 s[18:19], vcc
	s_xor_b64 s[74:75], exec, s[18:19]
	s_cbranch_execz .LBB2_604
; %bb.595:                              ;   in Loop: Header=BB2_505 Depth=2
	v_mov_b32_e32 v10, 0
	v_cmp_ne_u32_e32 vcc, 0, v11
	s_and_saveexec_b64 s[76:77], vcc
	s_cbranch_execz .LBB2_603
; %bb.596:                              ;   in Loop: Header=BB2_505 Depth=2
	v_bfe_u32 v10, v11, 23, 8
	v_and_b32_e32 v18, 0x7fffff, v11
	v_cmp_gt_u32_e64 s[18:19], s48, v10
	v_sub_u32_e32 v11, 0x79, v10
	v_cmp_eq_u32_e32 vcc, 0, v10
	v_cndmask_b32_e64 v11, 0, v11, s[18:19]
	v_or_b32_e32 v27, 0x800000, v18
	v_cndmask_b32_e32 v11, v11, v7, vcc
	v_cndmask_b32_e32 v27, v27, v18, vcc
	v_add_u32_e32 v18, 20, v11
	v_lshlrev_b64 v[29:30], v18, -1
	v_mov_b32_e32 v28, v41
	v_add_u32_e32 v18, 19, v11
	v_bfi_b32 v29, v29, 0, v27
	v_lshlrev_b64 v[44:45], v18, 1
	v_lshrrev_b64 v[27:28], v11, v[27:28]
	v_bfi_b32 v30, v30, 0, 0
	v_cmp_eq_u64_e64 s[18:19], v[29:30], v[44:45]
	v_mov_b32_e32 v29, v28
	v_mov_b32_e32 v28, v27
	s_and_saveexec_b64 s[78:79], s[18:19]
; %bb.597:                              ;   in Loop: Header=BB2_505 Depth=2
	v_bfe_u32 v18, v27, 20, 1
	v_add_co_u32_e64 v18, s[18:19], v27, v18
	v_add_co_u32_e64 v28, s[18:19], -1, v18
; %bb.598:                              ;   in Loop: Header=BB2_505 Depth=2
	s_or_b64 exec, exec, s[78:79]
	v_add_u32_e32 v10, 0xffffff81, v10
	v_cndmask_b32_e32 v10, v10, v8, vcc
	v_lshrrev_b32_e32 v18, 23, v27
	v_add3_u32 v18, v11, v10, v18
	v_add_u32_e32 v11, 6, v18
	v_and_b32_e32 v10, 0xfffff, v28
	v_add_u32_e32 v27, v10, v27
	v_mov_b32_e32 v28, v41
	v_cmp_ne_u32_e32 vcc, 0, v11
                                        ; implicit-def: $vgpr10
	s_and_saveexec_b64 s[18:19], vcc
	s_xor_b64 s[18:19], exec, s[18:19]
; %bb.599:                              ;   in Loop: Header=BB2_505 Depth=2
	v_cmp_lt_u64_e32 vcc, s[60:61], v[27:28]
	v_add_u32_e32 v10, 7, v18
	v_cndmask_b32_e32 v10, v11, v10, vcc
	v_cndmask_b32_e64 v11, 0, 1, vcc
	v_lshrrev_b64 v[27:28], v11, v[27:28]
; %bb.600:                              ;   in Loop: Header=BB2_505 Depth=2
	s_andn2_saveexec_b64 s[18:19], s[18:19]
; %bb.601:                              ;   in Loop: Header=BB2_505 Depth=2
	v_bfe_u32 v10, v27, 23, 1
; %bb.602:                              ;   in Loop: Header=BB2_505 Depth=2
	s_or_b64 exec, exec, s[18:19]
	v_lshrrev_b64 v[27:28], 20, v[27:28]
	v_cmp_gt_i32_e32 vcc, 16, v10
	v_cndmask_b32_e32 v28, 0, v28, vcc
	v_cndmask_b32_e32 v27, 7, v27, vcc
	v_cmp_eq_u32_e32 vcc, 0, v10
	v_min_i32_e32 v10, 15, v10
	v_cmp_eq_u64_e64 s[18:19], 0, v[27:28]
	v_lshlrev_b32_e32 v10, 3, v10
	v_and_b32_e32 v10, 0xf8, v10
	v_and_or_b32 v10, v27, 7, v10
	s_and_b64 s[18:19], vcc, s[18:19]
	v_cndmask_b32_e64 v10, v10, 0, s[18:19]
	v_or_b32_e32 v10, v10, v0
.LBB2_603:                              ;   in Loop: Header=BB2_505 Depth=2
	s_or_b64 exec, exec, s[76:77]
                                        ; implicit-def: $vgpr0
.LBB2_604:                              ;   in Loop: Header=BB2_505 Depth=2
	s_andn2_saveexec_b64 s[18:19], s[74:75]
; %bb.605:                              ;   in Loop: Header=BB2_505 Depth=2
	v_or_b32_e32 v10, 0x7e, v0
; %bb.606:                              ;   in Loop: Header=BB2_505 Depth=2
	s_or_b64 exec, exec, s[18:19]
                                        ; implicit-def: $vgpr11
.LBB2_607:                              ;   in Loop: Header=BB2_505 Depth=2
	s_andn2_saveexec_b64 s[18:19], s[72:73]
; %bb.608:                              ;   in Loop: Header=BB2_505 Depth=2
	v_or_b32_sdwa v10, v11, s39 dst_sel:DWORD dst_unused:UNUSED_PAD src0_sel:BYTE_3 src1_sel:DWORD
; %bb.609:                              ;   in Loop: Header=BB2_505 Depth=2
	s_or_b64 exec, exec, s[18:19]
	v_lshrrev_b32_e32 v18, 16, v17
	v_lshrrev_b32_e32 v0, 16, v40
	v_cmp_ne_u16_sdwa s[18:19], v18, v41 src0_sel:BYTE_0 src1_sel:DWORD
                                        ; implicit-def: $vgpr27
	s_and_saveexec_b64 s[72:73], s[14:15]
	s_xor_b64 s[72:73], exec, s[72:73]
	s_cbranch_execz .LBB2_623
; %bb.610:                              ;   in Loop: Header=BB2_505 Depth=2
	v_mov_b32_e32 v27, 0
	v_mov_b32_e32 v11, 0
	s_and_saveexec_b64 s[74:75], s[18:19]
	s_cbranch_execz .LBB2_616
; %bb.611:                              ;   in Loop: Header=BB2_505 Depth=2
	v_cmp_ne_u16_sdwa s[78:79], v18, s38 src0_sel:BYTE_0 src1_sel:DWORD
	v_bfrev_b32_e32 v11, 1
	s_and_saveexec_b64 s[76:77], s[78:79]
	s_cbranch_execz .LBB2_615
; %bb.612:                              ;   in Loop: Header=BB2_505 Depth=2
	v_bfe_u32 v28, v17, 16, 7
	v_cmp_ne_u32_e32 vcc, s39, v28
	v_mov_b32_e32 v11, 0x7f800001
	s_and_saveexec_b64 s[78:79], vcc
	s_cbranch_execz .LBB2_614
; %bb.613:                              ;   in Loop: Header=BB2_505 Depth=2
	v_and_b32_e32 v11, 7, v18
	v_lshrrev_b32_e32 v30, 3, v28
	v_cmp_gt_u32_e32 vcc, 8, v28
	v_ffbh_u32_e32 v28, v11
	v_min_u32_e32 v33, 32, v28
	v_subrev_u32_e32 v28, 28, v33
	v_lshlrev_b64 v[28:29], v28, v[18:19]
	v_sub_u32_e32 v29, 29, v33
	v_and_b32_e32 v28, 7, v28
	v_cndmask_b32_e32 v29, v30, v29, vcc
	v_cndmask_b32_e32 v11, v11, v28, vcc
	v_lshlrev_b32_e32 v18, 24, v18
	v_lshlrev_b32_e32 v11, 20, v11
	v_and_b32_e32 v18, 0x80000000, v18
	v_lshl_add_u32 v28, v29, 23, v26
	v_or3_b32 v11, v18, v28, v11
.LBB2_614:                              ;   in Loop: Header=BB2_505 Depth=2
	s_or_b64 exec, exec, s[78:79]
.LBB2_615:                              ;   in Loop: Header=BB2_505 Depth=2
	s_or_b64 exec, exec, s[76:77]
.LBB2_616:                              ;   in Loop: Header=BB2_505 Depth=2
	s_or_b64 exec, exec, s[74:75]
	v_and_b32_sdwa v18, v40, s37 dst_sel:DWORD dst_unused:UNUSED_PAD src0_sel:WORD_1 src1_sel:DWORD
	v_cmp_ne_u16_e32 vcc, 0, v18
	s_and_saveexec_b64 s[74:75], vcc
	s_cbranch_execz .LBB2_622
; %bb.617:                              ;   in Loop: Header=BB2_505 Depth=2
	v_cmp_ne_u16_e32 vcc, s38, v18
	v_bfrev_b32_e32 v27, 1
	s_and_saveexec_b64 s[76:77], vcc
	s_cbranch_execz .LBB2_621
; %bb.618:                              ;   in Loop: Header=BB2_505 Depth=2
	v_bfe_u32 v18, v40, 16, 7
	v_cmp_ne_u32_e32 vcc, s39, v18
	v_mov_b32_e32 v27, 0x7f800001
	s_and_saveexec_b64 s[78:79], vcc
	s_cbranch_execz .LBB2_620
; %bb.619:                              ;   in Loop: Header=BB2_505 Depth=2
	v_and_b32_e32 v29, 7, v0
	v_lshrrev_b32_e32 v30, 3, v18
	v_cmp_gt_u32_e32 vcc, 8, v18
	v_ffbh_u32_e32 v18, v29
	v_min_u32_e32 v18, 32, v18
	v_subrev_u32_e32 v27, 28, v18
	v_lshlrev_b64 v[27:28], v27, v[0:1]
	v_sub_u32_e32 v0, 29, v18
	v_and_b32_e32 v18, 7, v27
	v_cndmask_b32_e32 v0, v30, v0, vcc
	v_cndmask_b32_e32 v18, v29, v18, vcc
	v_lshlrev_b32_sdwa v27, v54, v40 dst_sel:DWORD dst_unused:UNUSED_PAD src0_sel:DWORD src1_sel:WORD_1
	v_lshlrev_b32_e32 v18, 20, v18
	v_and_b32_e32 v27, 0x80000000, v27
	v_lshl_add_u32 v0, v0, 23, v26
	v_or3_b32 v27, v27, v0, v18
.LBB2_620:                              ;   in Loop: Header=BB2_505 Depth=2
	s_or_b64 exec, exec, s[78:79]
.LBB2_621:                              ;   in Loop: Header=BB2_505 Depth=2
	s_or_b64 exec, exec, s[76:77]
.LBB2_622:                              ;   in Loop: Header=BB2_505 Depth=2
	s_or_b64 exec, exec, s[74:75]
	v_max_f32_e32 v0, v27, v27
	v_max_f32_e32 v11, v11, v11
	;; [unrolled: 1-line block ×3, first 2 shown]
                                        ; implicit-def: $vgpr18
                                        ; implicit-def: $vgpr0
.LBB2_623:                              ;   in Loop: Header=BB2_505 Depth=2
	s_andn2_saveexec_b64 s[72:73], s[72:73]
	s_cbranch_execz .LBB2_637
; %bb.624:                              ;   in Loop: Header=BB2_505 Depth=2
	v_mov_b32_e32 v27, 0
	v_mov_b32_e32 v11, 0
	s_and_saveexec_b64 s[74:75], s[18:19]
	s_cbranch_execz .LBB2_630
; %bb.625:                              ;   in Loop: Header=BB2_505 Depth=2
	v_cmp_ne_u16_sdwa s[76:77], v18, s38 src0_sel:BYTE_0 src1_sel:DWORD
	v_bfrev_b32_e32 v11, 1
	s_and_saveexec_b64 s[18:19], s[76:77]
	s_cbranch_execz .LBB2_629
; %bb.626:                              ;   in Loop: Header=BB2_505 Depth=2
	v_bfe_u32 v28, v17, 16, 7
	v_cmp_ne_u32_e32 vcc, s39, v28
	v_mov_b32_e32 v11, 0x7f800001
	s_and_saveexec_b64 s[76:77], vcc
	s_cbranch_execz .LBB2_628
; %bb.627:                              ;   in Loop: Header=BB2_505 Depth=2
	v_and_b32_e32 v11, 7, v18
	v_lshrrev_b32_e32 v30, 3, v28
	v_cmp_gt_u32_e32 vcc, 8, v28
	v_ffbh_u32_e32 v28, v11
	v_min_u32_e32 v33, 32, v28
	v_subrev_u32_e32 v28, 28, v33
	v_lshlrev_b64 v[28:29], v28, v[18:19]
	v_sub_u32_e32 v29, 29, v33
	v_and_b32_e32 v28, 7, v28
	v_cndmask_b32_e32 v29, v30, v29, vcc
	v_cndmask_b32_e32 v11, v11, v28, vcc
	v_lshlrev_b32_e32 v18, 24, v18
	v_lshlrev_b32_e32 v11, 20, v11
	v_and_b32_e32 v18, 0x80000000, v18
	v_lshl_add_u32 v28, v29, 23, v26
	v_or3_b32 v11, v18, v28, v11
.LBB2_628:                              ;   in Loop: Header=BB2_505 Depth=2
	s_or_b64 exec, exec, s[76:77]
.LBB2_629:                              ;   in Loop: Header=BB2_505 Depth=2
	s_or_b64 exec, exec, s[18:19]
.LBB2_630:                              ;   in Loop: Header=BB2_505 Depth=2
	s_or_b64 exec, exec, s[74:75]
	v_and_b32_sdwa v18, v40, s37 dst_sel:DWORD dst_unused:UNUSED_PAD src0_sel:WORD_1 src1_sel:DWORD
	v_cmp_ne_u16_e32 vcc, 0, v18
	s_and_saveexec_b64 s[18:19], vcc
	s_cbranch_execz .LBB2_636
; %bb.631:                              ;   in Loop: Header=BB2_505 Depth=2
	v_cmp_ne_u16_e32 vcc, s38, v18
	v_bfrev_b32_e32 v27, 1
	s_and_saveexec_b64 s[74:75], vcc
	s_cbranch_execz .LBB2_635
; %bb.632:                              ;   in Loop: Header=BB2_505 Depth=2
	v_bfe_u32 v18, v40, 16, 7
	v_cmp_ne_u32_e32 vcc, s39, v18
	v_mov_b32_e32 v27, 0x7f800001
	s_and_saveexec_b64 s[76:77], vcc
	s_cbranch_execz .LBB2_634
; %bb.633:                              ;   in Loop: Header=BB2_505 Depth=2
	v_and_b32_e32 v29, 7, v0
	v_lshrrev_b32_e32 v30, 3, v18
	v_cmp_gt_u32_e32 vcc, 8, v18
	v_ffbh_u32_e32 v18, v29
	v_min_u32_e32 v18, 32, v18
	v_subrev_u32_e32 v27, 28, v18
	v_lshlrev_b64 v[27:28], v27, v[0:1]
	v_sub_u32_e32 v0, 29, v18
	v_and_b32_e32 v18, 7, v27
	v_cndmask_b32_e32 v0, v30, v0, vcc
	v_cndmask_b32_e32 v18, v29, v18, vcc
	v_lshlrev_b32_sdwa v27, v54, v40 dst_sel:DWORD dst_unused:UNUSED_PAD src0_sel:DWORD src1_sel:WORD_1
	v_lshlrev_b32_e32 v18, 20, v18
	v_and_b32_e32 v27, 0x80000000, v27
	v_lshl_add_u32 v0, v0, 23, v26
	v_or3_b32 v27, v27, v0, v18
.LBB2_634:                              ;   in Loop: Header=BB2_505 Depth=2
	s_or_b64 exec, exec, s[76:77]
.LBB2_635:                              ;   in Loop: Header=BB2_505 Depth=2
	s_or_b64 exec, exec, s[74:75]
.LBB2_636:                              ;   in Loop: Header=BB2_505 Depth=2
	s_or_b64 exec, exec, s[18:19]
	v_max_f32_e32 v0, v27, v27
	v_max_f32_e32 v11, v11, v11
	v_min_f32_e32 v27, v11, v0
.LBB2_637:                              ;   in Loop: Header=BB2_505 Depth=2
	s_or_b64 exec, exec, s[72:73]
	v_and_b32_e32 v28, 0x7f800000, v27
	v_mov_b32_e32 v29, v41
	v_cmp_ne_u64_e32 vcc, s[56:57], v[28:29]
                                        ; implicit-def: $vgpr11
	s_and_saveexec_b64 s[18:19], vcc
	s_xor_b64 s[72:73], exec, s[18:19]
	s_cbranch_execz .LBB2_651
; %bb.638:                              ;   in Loop: Header=BB2_505 Depth=2
	v_and_b32_e32 v28, 0x7fffffff, v27
	v_mov_b32_e32 v29, v41
	v_cmp_gt_u64_e32 vcc, s[58:59], v[28:29]
	v_and_b32_sdwa v0, v27, s38 dst_sel:DWORD dst_unused:UNUSED_PAD src0_sel:BYTE_3 src1_sel:DWORD
                                        ; implicit-def: $vgpr11
	s_and_saveexec_b64 s[18:19], vcc
	s_xor_b64 s[74:75], exec, s[18:19]
	s_cbranch_execz .LBB2_648
; %bb.639:                              ;   in Loop: Header=BB2_505 Depth=2
	v_mov_b32_e32 v11, 0
	v_cmp_ne_u32_e32 vcc, 0, v27
	s_and_saveexec_b64 s[76:77], vcc
	s_cbranch_execz .LBB2_647
; %bb.640:                              ;   in Loop: Header=BB2_505 Depth=2
	v_bfe_u32 v11, v27, 23, 8
	v_cmp_gt_u32_e64 s[18:19], s48, v11
	v_sub_u32_e32 v18, 0x79, v11
	v_cmp_eq_u32_e32 vcc, 0, v11
	v_cndmask_b32_e64 v18, 0, v18, s[18:19]
	v_cndmask_b32_e32 v18, v18, v7, vcc
	v_and_b32_e32 v28, 0x7fffff, v27
	v_add_u32_e32 v29, 20, v18
	v_or_b32_e32 v27, 0x800000, v28
	v_lshlrev_b64 v[29:30], v29, -1
	v_cndmask_b32_e32 v27, v27, v28, vcc
	v_mov_b32_e32 v28, v41
	v_add_u32_e32 v33, 19, v18
	v_bfi_b32 v29, v29, 0, v27
	v_lshlrev_b64 v[44:45], v33, 1
	v_lshrrev_b64 v[27:28], v18, v[27:28]
	v_bfi_b32 v30, v30, 0, 0
	v_cmp_eq_u64_e64 s[18:19], v[29:30], v[44:45]
	v_mov_b32_e32 v29, v28
	v_mov_b32_e32 v28, v27
	s_and_saveexec_b64 s[78:79], s[18:19]
; %bb.641:                              ;   in Loop: Header=BB2_505 Depth=2
	v_bfe_u32 v28, v27, 20, 1
	v_add_co_u32_e64 v28, s[18:19], v27, v28
	v_add_co_u32_e64 v28, s[18:19], -1, v28
; %bb.642:                              ;   in Loop: Header=BB2_505 Depth=2
	s_or_b64 exec, exec, s[78:79]
	v_add_u32_e32 v11, 0xffffff81, v11
	v_cndmask_b32_e32 v11, v11, v8, vcc
	v_lshrrev_b32_e32 v29, 23, v27
	v_add3_u32 v29, v18, v11, v29
	v_add_u32_e32 v18, 6, v29
	v_and_b32_e32 v11, 0xfffff, v28
	v_add_u32_e32 v27, v11, v27
	v_mov_b32_e32 v28, v41
	v_cmp_ne_u32_e32 vcc, 0, v18
                                        ; implicit-def: $vgpr11
	s_and_saveexec_b64 s[18:19], vcc
	s_xor_b64 s[18:19], exec, s[18:19]
; %bb.643:                              ;   in Loop: Header=BB2_505 Depth=2
	v_cmp_lt_u64_e32 vcc, s[60:61], v[27:28]
	v_add_u32_e32 v11, 7, v29
	v_cndmask_b32_e32 v11, v18, v11, vcc
	v_cndmask_b32_e64 v18, 0, 1, vcc
	v_lshrrev_b64 v[27:28], v18, v[27:28]
; %bb.644:                              ;   in Loop: Header=BB2_505 Depth=2
	s_andn2_saveexec_b64 s[18:19], s[18:19]
; %bb.645:                              ;   in Loop: Header=BB2_505 Depth=2
	v_bfe_u32 v11, v27, 23, 1
; %bb.646:                              ;   in Loop: Header=BB2_505 Depth=2
	s_or_b64 exec, exec, s[18:19]
	v_lshrrev_b64 v[27:28], 20, v[27:28]
	v_cmp_gt_i32_e32 vcc, 16, v11
	v_cndmask_b32_e32 v28, 0, v28, vcc
	v_cndmask_b32_e32 v27, 7, v27, vcc
	v_cmp_eq_u32_e32 vcc, 0, v11
	v_min_i32_e32 v11, 15, v11
	v_cmp_eq_u64_e64 s[18:19], 0, v[27:28]
	v_lshlrev_b32_e32 v11, 3, v11
	v_and_b32_e32 v11, 0xf8, v11
	v_and_or_b32 v11, v27, 7, v11
	s_and_b64 s[18:19], vcc, s[18:19]
	v_cndmask_b32_e64 v11, v11, 0, s[18:19]
	v_or_b32_e32 v11, v11, v0
.LBB2_647:                              ;   in Loop: Header=BB2_505 Depth=2
	s_or_b64 exec, exec, s[76:77]
                                        ; implicit-def: $vgpr0
.LBB2_648:                              ;   in Loop: Header=BB2_505 Depth=2
	s_andn2_saveexec_b64 s[18:19], s[74:75]
; %bb.649:                              ;   in Loop: Header=BB2_505 Depth=2
	v_or_b32_e32 v11, 0x7e, v0
; %bb.650:                              ;   in Loop: Header=BB2_505 Depth=2
	s_or_b64 exec, exec, s[18:19]
                                        ; implicit-def: $vgpr27
.LBB2_651:                              ;   in Loop: Header=BB2_505 Depth=2
	s_andn2_saveexec_b64 s[18:19], s[72:73]
; %bb.652:                              ;   in Loop: Header=BB2_505 Depth=2
	v_or_b32_sdwa v11, v27, s39 dst_sel:DWORD dst_unused:UNUSED_PAD src0_sel:BYTE_3 src1_sel:DWORD
; %bb.653:                              ;   in Loop: Header=BB2_505 Depth=2
	s_or_b64 exec, exec, s[18:19]
	v_lshrrev_b32_e32 v18, 24, v17
	v_lshrrev_b32_e32 v0, 24, v40
	v_cmp_lt_u32_e32 vcc, s49, v17
                                        ; implicit-def: $vgpr27
	s_and_saveexec_b64 s[18:19], s[14:15]
	s_xor_b64 s[72:73], exec, s[18:19]
	s_cbranch_execz .LBB2_667
; %bb.654:                              ;   in Loop: Header=BB2_505 Depth=2
	v_mov_b32_e32 v28, 0
	v_mov_b32_e32 v27, 0
	s_and_saveexec_b64 s[74:75], vcc
	s_cbranch_execz .LBB2_660
; %bb.655:                              ;   in Loop: Header=BB2_505 Depth=2
	v_cmp_ne_u32_e64 s[18:19], s38, v18
	v_bfrev_b32_e32 v27, 1
	s_and_saveexec_b64 s[76:77], s[18:19]
	s_cbranch_execz .LBB2_659
; %bb.656:                              ;   in Loop: Header=BB2_505 Depth=2
	v_bfe_u32 v17, v17, 24, 7
	v_cmp_ne_u32_e64 s[18:19], s39, v17
	v_mov_b32_e32 v27, 0x7f800001
	s_and_saveexec_b64 s[78:79], s[18:19]
	s_cbranch_execz .LBB2_658
; %bb.657:                              ;   in Loop: Header=BB2_505 Depth=2
	v_and_b32_e32 v27, 7, v18
	v_lshrrev_b32_e32 v33, 3, v17
	v_cmp_gt_u32_e64 s[18:19], 8, v17
	v_ffbh_u32_e32 v17, v27
	v_min_u32_e32 v17, 32, v17
	v_subrev_u32_e32 v29, 28, v17
	v_lshlrev_b64 v[29:30], v29, v[18:19]
	v_sub_u32_e32 v17, 29, v17
	v_and_b32_e32 v29, 7, v29
	v_cndmask_b32_e64 v17, v33, v17, s[18:19]
	v_cndmask_b32_e64 v27, v27, v29, s[18:19]
	v_lshlrev_b32_e32 v18, 24, v18
	v_lshlrev_b32_e32 v27, 20, v27
	v_and_b32_e32 v18, 0x80000000, v18
	v_lshl_add_u32 v17, v17, 23, v26
	v_or3_b32 v27, v18, v17, v27
.LBB2_658:                              ;   in Loop: Header=BB2_505 Depth=2
	s_or_b64 exec, exec, s[78:79]
.LBB2_659:                              ;   in Loop: Header=BB2_505 Depth=2
	s_or_b64 exec, exec, s[76:77]
.LBB2_660:                              ;   in Loop: Header=BB2_505 Depth=2
	s_or_b64 exec, exec, s[74:75]
	v_cmp_lt_u32_e64 s[18:19], s49, v40
	s_and_saveexec_b64 s[74:75], s[18:19]
	s_cbranch_execz .LBB2_666
; %bb.661:                              ;   in Loop: Header=BB2_505 Depth=2
	v_cmp_ne_u32_sdwa s[18:19], v40, s38 src0_sel:BYTE_3 src1_sel:DWORD
	v_bfrev_b32_e32 v28, 1
	s_and_saveexec_b64 s[76:77], s[18:19]
	s_cbranch_execz .LBB2_665
; %bb.662:                              ;   in Loop: Header=BB2_505 Depth=2
	v_bfe_u32 v17, v40, 24, 7
	v_cmp_ne_u32_e64 s[18:19], s39, v17
	v_mov_b32_e32 v28, 0x7f800001
	s_and_saveexec_b64 s[78:79], s[18:19]
	s_cbranch_execz .LBB2_664
; %bb.663:                              ;   in Loop: Header=BB2_505 Depth=2
	v_and_b32_e32 v28, 7, v0
	v_lshrrev_b32_e32 v29, 3, v17
	v_cmp_gt_u32_e64 s[18:19], 8, v17
	v_ffbh_u32_e32 v17, v28
	v_min_u32_e32 v30, 32, v17
	v_subrev_u32_e32 v17, 28, v30
	v_lshlrev_b64 v[17:18], v17, v[0:1]
	v_sub_u32_e32 v0, 29, v30
	v_and_b32_e32 v17, 7, v17
	v_cndmask_b32_e64 v0, v29, v0, s[18:19]
	v_cndmask_b32_e64 v17, v28, v17, s[18:19]
	v_lshlrev_b32_sdwa v18, v54, v40 dst_sel:DWORD dst_unused:UNUSED_PAD src0_sel:DWORD src1_sel:BYTE_3
	v_lshlrev_b32_e32 v17, 20, v17
	v_and_b32_e32 v18, 0x80000000, v18
	v_lshl_add_u32 v0, v0, 23, v26
	v_or3_b32 v28, v18, v0, v17
.LBB2_664:                              ;   in Loop: Header=BB2_505 Depth=2
	s_or_b64 exec, exec, s[78:79]
.LBB2_665:                              ;   in Loop: Header=BB2_505 Depth=2
	s_or_b64 exec, exec, s[76:77]
.LBB2_666:                              ;   in Loop: Header=BB2_505 Depth=2
	s_or_b64 exec, exec, s[74:75]
	v_max_f32_e32 v0, v28, v28
	v_max_f32_e32 v17, v27, v27
	;; [unrolled: 1-line block ×3, first 2 shown]
                                        ; implicit-def: $vgpr18
                                        ; implicit-def: $vgpr0
.LBB2_667:                              ;   in Loop: Header=BB2_505 Depth=2
	s_andn2_saveexec_b64 s[18:19], s[72:73]
	s_cbranch_execz .LBB2_681
; %bb.668:                              ;   in Loop: Header=BB2_505 Depth=2
	v_mov_b32_e32 v28, 0
	v_mov_b32_e32 v27, 0
	s_and_saveexec_b64 s[72:73], vcc
	s_cbranch_execz .LBB2_674
; %bb.669:                              ;   in Loop: Header=BB2_505 Depth=2
	v_cmp_ne_u32_e32 vcc, s38, v18
	v_bfrev_b32_e32 v27, 1
	s_and_saveexec_b64 s[74:75], vcc
	s_cbranch_execz .LBB2_673
; %bb.670:                              ;   in Loop: Header=BB2_505 Depth=2
	v_bfe_u32 v17, v17, 24, 7
	v_cmp_ne_u32_e32 vcc, s39, v17
	v_mov_b32_e32 v27, 0x7f800001
	s_and_saveexec_b64 s[76:77], vcc
	s_cbranch_execz .LBB2_672
; %bb.671:                              ;   in Loop: Header=BB2_505 Depth=2
	v_and_b32_e32 v27, 7, v18
	v_lshrrev_b32_e32 v33, 3, v17
	v_cmp_gt_u32_e32 vcc, 8, v17
	v_ffbh_u32_e32 v17, v27
	v_min_u32_e32 v17, 32, v17
	v_subrev_u32_e32 v29, 28, v17
	v_lshlrev_b64 v[29:30], v29, v[18:19]
	v_sub_u32_e32 v17, 29, v17
	v_and_b32_e32 v29, 7, v29
	v_cndmask_b32_e32 v17, v33, v17, vcc
	v_cndmask_b32_e32 v27, v27, v29, vcc
	v_lshlrev_b32_e32 v18, 24, v18
	v_lshlrev_b32_e32 v27, 20, v27
	v_and_b32_e32 v18, 0x80000000, v18
	v_lshl_add_u32 v17, v17, 23, v26
	v_or3_b32 v27, v18, v17, v27
.LBB2_672:                              ;   in Loop: Header=BB2_505 Depth=2
	s_or_b64 exec, exec, s[76:77]
.LBB2_673:                              ;   in Loop: Header=BB2_505 Depth=2
	s_or_b64 exec, exec, s[74:75]
.LBB2_674:                              ;   in Loop: Header=BB2_505 Depth=2
	s_or_b64 exec, exec, s[72:73]
	v_cmp_lt_u32_e32 vcc, s49, v40
	s_and_saveexec_b64 s[72:73], vcc
	s_cbranch_execz .LBB2_680
; %bb.675:                              ;   in Loop: Header=BB2_505 Depth=2
	v_cmp_ne_u32_sdwa s[76:77], v40, s38 src0_sel:BYTE_3 src1_sel:DWORD
	v_bfrev_b32_e32 v28, 1
	s_and_saveexec_b64 s[74:75], s[76:77]
	s_cbranch_execz .LBB2_679
; %bb.676:                              ;   in Loop: Header=BB2_505 Depth=2
	v_bfe_u32 v17, v40, 24, 7
	v_cmp_ne_u32_e32 vcc, s39, v17
	v_mov_b32_e32 v28, 0x7f800001
	s_and_saveexec_b64 s[76:77], vcc
	s_cbranch_execz .LBB2_678
; %bb.677:                              ;   in Loop: Header=BB2_505 Depth=2
	v_and_b32_e32 v28, 7, v0
	v_lshrrev_b32_e32 v29, 3, v17
	v_cmp_gt_u32_e32 vcc, 8, v17
	v_ffbh_u32_e32 v17, v28
	v_min_u32_e32 v30, 32, v17
	v_subrev_u32_e32 v17, 28, v30
	v_lshlrev_b64 v[17:18], v17, v[0:1]
	v_sub_u32_e32 v0, 29, v30
	v_and_b32_e32 v17, 7, v17
	v_cndmask_b32_e32 v0, v29, v0, vcc
	v_cndmask_b32_e32 v17, v28, v17, vcc
	v_lshlrev_b32_sdwa v18, v54, v40 dst_sel:DWORD dst_unused:UNUSED_PAD src0_sel:DWORD src1_sel:BYTE_3
	v_lshlrev_b32_e32 v17, 20, v17
	v_and_b32_e32 v18, 0x80000000, v18
	v_lshl_add_u32 v0, v0, 23, v26
	v_or3_b32 v28, v18, v0, v17
.LBB2_678:                              ;   in Loop: Header=BB2_505 Depth=2
	s_or_b64 exec, exec, s[76:77]
.LBB2_679:                              ;   in Loop: Header=BB2_505 Depth=2
	s_or_b64 exec, exec, s[74:75]
.LBB2_680:                              ;   in Loop: Header=BB2_505 Depth=2
	s_or_b64 exec, exec, s[72:73]
	v_max_f32_e32 v0, v28, v28
	v_max_f32_e32 v17, v27, v27
	v_min_f32_e32 v27, v17, v0
.LBB2_681:                              ;   in Loop: Header=BB2_505 Depth=2
	s_or_b64 exec, exec, s[18:19]
	v_and_b32_e32 v40, 0x7f800000, v27
	v_cmp_ne_u64_e32 vcc, s[56:57], v[40:41]
                                        ; implicit-def: $vgpr29
	s_and_saveexec_b64 s[18:19], vcc
	s_xor_b64 s[72:73], exec, s[18:19]
	s_cbranch_execz .LBB2_695
; %bb.682:                              ;   in Loop: Header=BB2_505 Depth=2
	v_and_b32_e32 v40, 0x7fffffff, v27
	v_cmp_gt_u64_e32 vcc, s[58:59], v[40:41]
	v_and_b32_sdwa v0, v27, s38 dst_sel:DWORD dst_unused:UNUSED_PAD src0_sel:BYTE_3 src1_sel:DWORD
                                        ; implicit-def: $vgpr29
	s_and_saveexec_b64 s[18:19], vcc
	s_xor_b64 s[74:75], exec, s[18:19]
	s_cbranch_execz .LBB2_692
; %bb.683:                              ;   in Loop: Header=BB2_505 Depth=2
	v_mov_b32_e32 v29, 0
	v_cmp_ne_u32_e32 vcc, 0, v27
	s_and_saveexec_b64 s[76:77], vcc
	s_cbranch_execz .LBB2_691
; %bb.684:                              ;   in Loop: Header=BB2_505 Depth=2
	v_bfe_u32 v29, v27, 23, 8
	v_cmp_gt_u32_e64 s[18:19], s48, v29
	v_sub_u32_e32 v18, 0x79, v29
	v_and_b32_e32 v17, 0x7fffff, v27
	v_cmp_eq_u32_e32 vcc, 0, v29
	v_cndmask_b32_e64 v18, 0, v18, s[18:19]
	v_or_b32_e32 v27, 0x800000, v17
	v_cndmask_b32_e32 v30, v18, v7, vcc
	v_cndmask_b32_e32 v40, v27, v17, vcc
	v_add_u32_e32 v17, 20, v30
	v_lshlrev_b64 v[17:18], v17, -1
	v_add_u32_e32 v27, 19, v30
	v_lshlrev_b64 v[27:28], v27, 1
	v_bfi_b32 v18, v18, 0, 0
	v_bfi_b32 v17, v17, 0, v40
	v_cmp_eq_u64_e64 s[18:19], v[17:18], v[27:28]
	v_lshrrev_b64 v[17:18], v30, v[40:41]
	v_mov_b32_e32 v28, v18
	v_mov_b32_e32 v27, v17
	s_and_saveexec_b64 s[78:79], s[18:19]
; %bb.685:                              ;   in Loop: Header=BB2_505 Depth=2
	v_bfe_u32 v18, v17, 20, 1
	v_add_co_u32_e64 v18, s[18:19], v17, v18
	v_add_co_u32_e64 v27, s[18:19], -1, v18
; %bb.686:                              ;   in Loop: Header=BB2_505 Depth=2
	s_or_b64 exec, exec, s[78:79]
	v_add_u32_e32 v18, 0xffffff81, v29
	v_cndmask_b32_e32 v18, v18, v8, vcc
	v_lshrrev_b32_e32 v28, 23, v17
	v_add3_u32 v29, v30, v18, v28
	v_add_u32_e32 v28, 6, v29
	v_and_b32_e32 v18, 0xfffff, v27
	v_add_u32_e32 v40, v18, v17
	v_cmp_ne_u32_e32 vcc, 0, v28
                                        ; implicit-def: $vgpr17_vgpr18
                                        ; implicit-def: $vgpr27
	s_and_saveexec_b64 s[18:19], vcc
	s_xor_b64 s[18:19], exec, s[18:19]
; %bb.687:                              ;   in Loop: Header=BB2_505 Depth=2
	v_cmp_lt_u64_e32 vcc, s[60:61], v[40:41]
	v_add_u32_e32 v17, 7, v29
	v_cndmask_b32_e32 v27, v28, v17, vcc
	v_cndmask_b32_e64 v17, 0, 1, vcc
	v_lshrrev_b64 v[17:18], v17, v[40:41]
; %bb.688:                              ;   in Loop: Header=BB2_505 Depth=2
	s_andn2_saveexec_b64 s[18:19], s[18:19]
; %bb.689:                              ;   in Loop: Header=BB2_505 Depth=2
	v_mov_b32_e32 v17, v40
	v_bfe_u32 v27, v40, 23, 1
	v_mov_b32_e32 v18, v41
; %bb.690:                              ;   in Loop: Header=BB2_505 Depth=2
	s_or_b64 exec, exec, s[18:19]
	v_lshrrev_b64 v[17:18], 20, v[17:18]
	v_cmp_gt_i32_e32 vcc, 16, v27
	v_cndmask_b32_e32 v18, 0, v18, vcc
	v_cndmask_b32_e32 v17, 7, v17, vcc
	v_cmp_eq_u64_e64 s[18:19], 0, v[17:18]
	v_min_i32_e32 v18, 15, v27
	v_lshlrev_b32_e32 v18, 3, v18
	v_cmp_eq_u32_e32 vcc, 0, v27
	v_and_b32_e32 v18, 0xf8, v18
	v_and_or_b32 v17, v17, 7, v18
	s_and_b64 s[18:19], vcc, s[18:19]
	v_cndmask_b32_e64 v17, v17, 0, s[18:19]
	v_or_b32_e32 v29, v17, v0
.LBB2_691:                              ;   in Loop: Header=BB2_505 Depth=2
	s_or_b64 exec, exec, s[76:77]
                                        ; implicit-def: $vgpr0
.LBB2_692:                              ;   in Loop: Header=BB2_505 Depth=2
	s_andn2_saveexec_b64 s[18:19], s[74:75]
; %bb.693:                              ;   in Loop: Header=BB2_505 Depth=2
	v_or_b32_e32 v29, 0x7e, v0
; %bb.694:                              ;   in Loop: Header=BB2_505 Depth=2
	s_or_b64 exec, exec, s[18:19]
                                        ; implicit-def: $vgpr27
.LBB2_695:                              ;   in Loop: Header=BB2_505 Depth=2
	s_andn2_saveexec_b64 s[18:19], s[72:73]
; %bb.696:                              ;   in Loop: Header=BB2_505 Depth=2
	v_or_b32_sdwa v29, v27, s39 dst_sel:DWORD dst_unused:UNUSED_PAD src0_sel:BYTE_3 src1_sel:DWORD
; %bb.697:                              ;   in Loop: Header=BB2_505 Depth=2
	s_or_b64 exec, exec, s[18:19]
	v_alignbit_b32 v40, v25, v31, v20
	v_mov_b32_e32 v20, v41
	v_cmp_ne_u16_sdwa s[18:19], v19, v41 src0_sel:BYTE_0 src1_sel:DWORD
                                        ; implicit-def: $vgpr17
	s_and_saveexec_b64 s[72:73], s[14:15]
	s_xor_b64 s[72:73], exec, s[72:73]
	s_cbranch_execz .LBB2_711
; %bb.698:                              ;   in Loop: Header=BB2_505 Depth=2
	v_mov_b32_e32 v17, 0
	v_mov_b32_e32 v0, 0
	s_and_saveexec_b64 s[74:75], s[18:19]
	s_cbranch_execz .LBB2_704
; %bb.699:                              ;   in Loop: Header=BB2_505 Depth=2
	v_cmp_ne_u16_sdwa s[78:79], v19, s38 src0_sel:BYTE_0 src1_sel:DWORD
	v_bfrev_b32_e32 v0, 1
	s_and_saveexec_b64 s[76:77], s[78:79]
	s_cbranch_execz .LBB2_703
; %bb.700:                              ;   in Loop: Header=BB2_505 Depth=2
	v_and_b32_e32 v18, 0x7f, v19
	v_cmp_ne_u32_e32 vcc, s39, v18
	v_mov_b32_e32 v0, 0x7f800001
	s_and_saveexec_b64 s[78:79], vcc
	s_cbranch_execz .LBB2_702
; %bb.701:                              ;   in Loop: Header=BB2_505 Depth=2
	v_and_b32_e32 v0, 7, v19
	v_ffbh_u32_e32 v0, v0
	v_min_u32_e32 v0, 32, v0
	v_lshrrev_b32_e32 v25, 3, v18
	v_cmp_gt_u32_e32 vcc, 8, v18
	v_subrev_u32_e32 v18, 28, v0
	v_cndmask_b32_e32 v18, 0, v18, vcc
	v_lshlrev_b64 v[27:28], v18, v[19:20]
	v_sub_u32_e32 v0, 29, v0
	v_cndmask_b32_e32 v0, v25, v0, vcc
	v_lshlrev_b32_e32 v18, 20, v27
	v_lshlrev_b32_e32 v20, 24, v19
	v_and_b32_e32 v18, 0x700000, v18
	v_and_b32_e32 v20, 0x80000000, v20
	v_lshl_add_u32 v0, v0, 23, v26
	v_or3_b32 v0, v20, v0, v18
.LBB2_702:                              ;   in Loop: Header=BB2_505 Depth=2
	s_or_b64 exec, exec, s[78:79]
.LBB2_703:                              ;   in Loop: Header=BB2_505 Depth=2
	s_or_b64 exec, exec, s[76:77]
.LBB2_704:                              ;   in Loop: Header=BB2_505 Depth=2
	s_or_b64 exec, exec, s[74:75]
	v_cmp_ne_u16_sdwa s[76:77], v40, v41 src0_sel:BYTE_0 src1_sel:DWORD
	s_and_saveexec_b64 s[74:75], s[76:77]
	s_cbranch_execz .LBB2_710
; %bb.705:                              ;   in Loop: Header=BB2_505 Depth=2
	v_cmp_ne_u16_sdwa s[78:79], v40, s38 src0_sel:BYTE_0 src1_sel:DWORD
	v_bfrev_b32_e32 v17, 1
	s_and_saveexec_b64 s[76:77], s[78:79]
	s_cbranch_execz .LBB2_709
; %bb.706:                              ;   in Loop: Header=BB2_505 Depth=2
	v_and_b32_e32 v18, 0x7f, v40
	v_cmp_ne_u32_e32 vcc, s39, v18
	v_mov_b32_e32 v17, 0x7f800001
	s_and_saveexec_b64 s[78:79], vcc
	s_cbranch_execz .LBB2_708
; %bb.707:                              ;   in Loop: Header=BB2_505 Depth=2
	v_and_b32_e32 v17, 7, v40
	v_ffbh_u32_e32 v17, v17
	v_min_u32_e32 v17, 32, v17
	v_lshrrev_b32_e32 v20, 3, v18
	v_cmp_gt_u32_e32 vcc, 8, v18
	v_subrev_u32_e32 v18, 28, v17
	v_sub_u32_e32 v17, 29, v17
	v_cndmask_b32_e32 v20, v20, v17, vcc
	v_cndmask_b32_e32 v17, 0, v18, vcc
	v_lshlrev_b64 v[17:18], v17, v[40:41]
	v_lshlrev_b32_e32 v18, 24, v40
	v_lshlrev_b32_e32 v17, 20, v17
	v_and_b32_e32 v17, 0x700000, v17
	v_and_b32_e32 v18, 0x80000000, v18
	v_lshl_add_u32 v20, v20, 23, v26
	v_or3_b32 v17, v18, v20, v17
.LBB2_708:                              ;   in Loop: Header=BB2_505 Depth=2
	s_or_b64 exec, exec, s[78:79]
.LBB2_709:                              ;   in Loop: Header=BB2_505 Depth=2
	s_or_b64 exec, exec, s[76:77]
.LBB2_710:                              ;   in Loop: Header=BB2_505 Depth=2
	s_or_b64 exec, exec, s[74:75]
	v_max_f32_e32 v17, v17, v17
	v_max_f32_e32 v0, v0, v0
	;; [unrolled: 1-line block ×3, first 2 shown]
.LBB2_711:                              ;   in Loop: Header=BB2_505 Depth=2
	s_andn2_saveexec_b64 s[72:73], s[72:73]
	s_cbranch_execz .LBB2_725
; %bb.712:                              ;   in Loop: Header=BB2_505 Depth=2
	v_mov_b32_e32 v17, 0
	v_mov_b32_e32 v0, 0
	s_and_saveexec_b64 s[74:75], s[18:19]
	s_cbranch_execz .LBB2_718
; %bb.713:                              ;   in Loop: Header=BB2_505 Depth=2
	v_cmp_ne_u16_sdwa s[76:77], v19, s38 src0_sel:BYTE_0 src1_sel:DWORD
	v_bfrev_b32_e32 v0, 1
	s_and_saveexec_b64 s[18:19], s[76:77]
	s_cbranch_execz .LBB2_717
; %bb.714:                              ;   in Loop: Header=BB2_505 Depth=2
	v_and_b32_e32 v18, 0x7f, v19
	v_cmp_ne_u32_e32 vcc, s39, v18
	v_mov_b32_e32 v0, 0x7f800001
	s_and_saveexec_b64 s[76:77], vcc
	s_cbranch_execz .LBB2_716
; %bb.715:                              ;   in Loop: Header=BB2_505 Depth=2
	v_and_b32_e32 v0, 7, v19
	v_ffbh_u32_e32 v0, v0
	v_min_u32_e32 v0, 32, v0
	v_lshrrev_b32_e32 v25, 3, v18
	v_cmp_gt_u32_e32 vcc, 8, v18
	v_subrev_u32_e32 v18, 28, v0
	v_cndmask_b32_e32 v18, 0, v18, vcc
	v_lshlrev_b64 v[27:28], v18, v[19:20]
	v_sub_u32_e32 v0, 29, v0
	v_cndmask_b32_e32 v0, v25, v0, vcc
	v_lshlrev_b32_e32 v18, 20, v27
	v_lshlrev_b32_e32 v20, 24, v19
	v_and_b32_e32 v18, 0x700000, v18
	v_and_b32_e32 v20, 0x80000000, v20
	v_lshl_add_u32 v0, v0, 23, v26
	v_or3_b32 v0, v20, v0, v18
.LBB2_716:                              ;   in Loop: Header=BB2_505 Depth=2
	s_or_b64 exec, exec, s[76:77]
.LBB2_717:                              ;   in Loop: Header=BB2_505 Depth=2
	s_or_b64 exec, exec, s[18:19]
.LBB2_718:                              ;   in Loop: Header=BB2_505 Depth=2
	s_or_b64 exec, exec, s[74:75]
	v_cmp_ne_u16_sdwa s[74:75], v40, v41 src0_sel:BYTE_0 src1_sel:DWORD
	s_and_saveexec_b64 s[18:19], s[74:75]
	s_cbranch_execz .LBB2_724
; %bb.719:                              ;   in Loop: Header=BB2_505 Depth=2
	v_cmp_ne_u16_sdwa s[76:77], v40, s38 src0_sel:BYTE_0 src1_sel:DWORD
	v_bfrev_b32_e32 v17, 1
	s_and_saveexec_b64 s[74:75], s[76:77]
	s_cbranch_execz .LBB2_723
; %bb.720:                              ;   in Loop: Header=BB2_505 Depth=2
	v_and_b32_e32 v18, 0x7f, v40
	v_cmp_ne_u32_e32 vcc, s39, v18
	v_mov_b32_e32 v17, 0x7f800001
	s_and_saveexec_b64 s[76:77], vcc
	s_cbranch_execz .LBB2_722
; %bb.721:                              ;   in Loop: Header=BB2_505 Depth=2
	v_and_b32_e32 v17, 7, v40
	v_ffbh_u32_e32 v17, v17
	v_min_u32_e32 v17, 32, v17
	v_lshrrev_b32_e32 v20, 3, v18
	v_cmp_gt_u32_e32 vcc, 8, v18
	v_subrev_u32_e32 v18, 28, v17
	v_sub_u32_e32 v17, 29, v17
	v_cndmask_b32_e32 v20, v20, v17, vcc
	v_cndmask_b32_e32 v17, 0, v18, vcc
	v_lshlrev_b64 v[17:18], v17, v[40:41]
	v_lshlrev_b32_e32 v18, 24, v40
	v_lshlrev_b32_e32 v17, 20, v17
	v_and_b32_e32 v17, 0x700000, v17
	v_and_b32_e32 v18, 0x80000000, v18
	v_lshl_add_u32 v20, v20, 23, v26
	v_or3_b32 v17, v18, v20, v17
.LBB2_722:                              ;   in Loop: Header=BB2_505 Depth=2
	s_or_b64 exec, exec, s[76:77]
.LBB2_723:                              ;   in Loop: Header=BB2_505 Depth=2
	s_or_b64 exec, exec, s[74:75]
.LBB2_724:                              ;   in Loop: Header=BB2_505 Depth=2
	s_or_b64 exec, exec, s[18:19]
	v_max_f32_e32 v17, v17, v17
	v_max_f32_e32 v0, v0, v0
	v_min_f32_e32 v17, v0, v17
.LBB2_725:                              ;   in Loop: Header=BB2_505 Depth=2
	s_or_b64 exec, exec, s[72:73]
	v_and_b32_e32 v27, 0x7f800000, v17
	v_mov_b32_e32 v28, v41
	v_cmp_ne_u64_e32 vcc, s[56:57], v[27:28]
                                        ; implicit-def: $vgpr25
	s_and_saveexec_b64 s[18:19], vcc
	s_xor_b64 s[72:73], exec, s[18:19]
	s_cbranch_execz .LBB2_739
; %bb.726:                              ;   in Loop: Header=BB2_505 Depth=2
	v_and_b32_e32 v27, 0x7fffffff, v17
	v_mov_b32_e32 v28, v41
	v_cmp_gt_u64_e32 vcc, s[58:59], v[27:28]
	v_and_b32_sdwa v0, v17, s38 dst_sel:DWORD dst_unused:UNUSED_PAD src0_sel:BYTE_3 src1_sel:DWORD
                                        ; implicit-def: $vgpr25
	s_and_saveexec_b64 s[18:19], vcc
	s_xor_b64 s[74:75], exec, s[18:19]
	s_cbranch_execz .LBB2_736
; %bb.727:                              ;   in Loop: Header=BB2_505 Depth=2
	v_mov_b32_e32 v25, 0
	v_cmp_ne_u32_e32 vcc, 0, v17
	s_and_saveexec_b64 s[76:77], vcc
	s_cbranch_execz .LBB2_735
; %bb.728:                              ;   in Loop: Header=BB2_505 Depth=2
	v_bfe_u32 v20, v17, 23, 8
	v_and_b32_e32 v18, 0x7fffff, v17
	v_cmp_gt_u32_e64 s[18:19], s48, v20
	v_sub_u32_e32 v17, 0x79, v20
	v_cmp_eq_u32_e32 vcc, 0, v20
	v_cndmask_b32_e64 v17, 0, v17, s[18:19]
	v_or_b32_e32 v27, 0x800000, v18
	v_cndmask_b32_e32 v25, v17, v7, vcc
	v_cndmask_b32_e32 v17, v27, v18, vcc
	v_add_u32_e32 v27, 20, v25
	v_lshlrev_b64 v[27:28], v27, -1
	v_mov_b32_e32 v18, v41
	v_add_u32_e32 v30, 19, v25
	v_bfi_b32 v27, v27, 0, v17
	v_lshlrev_b64 v[30:31], v30, 1
	v_lshrrev_b64 v[17:18], v25, v[17:18]
	v_bfi_b32 v28, v28, 0, 0
	v_cmp_eq_u64_e64 s[18:19], v[27:28], v[30:31]
	v_mov_b32_e32 v28, v18
	v_mov_b32_e32 v27, v17
	s_and_saveexec_b64 s[78:79], s[18:19]
; %bb.729:                              ;   in Loop: Header=BB2_505 Depth=2
	v_bfe_u32 v18, v17, 20, 1
	v_add_co_u32_e64 v18, s[18:19], v17, v18
	v_add_co_u32_e64 v27, s[18:19], -1, v18
; %bb.730:                              ;   in Loop: Header=BB2_505 Depth=2
	s_or_b64 exec, exec, s[78:79]
	v_add_u32_e32 v18, 0xffffff81, v20
	v_cndmask_b32_e32 v18, v18, v8, vcc
	v_lshrrev_b32_e32 v20, 23, v17
	v_add3_u32 v28, v25, v18, v20
	v_add_u32_e32 v25, 6, v28
	v_and_b32_e32 v18, 0xfffff, v27
	v_add_u32_e32 v17, v18, v17
	v_mov_b32_e32 v18, v41
	v_cmp_ne_u32_e32 vcc, 0, v25
                                        ; implicit-def: $vgpr20
	s_and_saveexec_b64 s[18:19], vcc
	s_xor_b64 s[18:19], exec, s[18:19]
; %bb.731:                              ;   in Loop: Header=BB2_505 Depth=2
	v_cmp_lt_u64_e32 vcc, s[60:61], v[17:18]
	v_add_u32_e32 v20, 7, v28
	v_cndmask_b32_e32 v20, v25, v20, vcc
	v_cndmask_b32_e64 v25, 0, 1, vcc
	v_lshrrev_b64 v[17:18], v25, v[17:18]
; %bb.732:                              ;   in Loop: Header=BB2_505 Depth=2
	s_andn2_saveexec_b64 s[18:19], s[18:19]
; %bb.733:                              ;   in Loop: Header=BB2_505 Depth=2
	v_bfe_u32 v20, v17, 23, 1
; %bb.734:                              ;   in Loop: Header=BB2_505 Depth=2
	s_or_b64 exec, exec, s[18:19]
	v_lshrrev_b64 v[17:18], 20, v[17:18]
	v_cmp_gt_i32_e32 vcc, 16, v20
	v_cndmask_b32_e32 v18, 0, v18, vcc
	v_cndmask_b32_e32 v17, 7, v17, vcc
	v_cmp_eq_u64_e64 s[18:19], 0, v[17:18]
	v_min_i32_e32 v18, 15, v20
	v_lshlrev_b32_e32 v18, 3, v18
	v_cmp_eq_u32_e32 vcc, 0, v20
	v_and_b32_e32 v18, 0xf8, v18
	v_and_or_b32 v17, v17, 7, v18
	s_and_b64 s[18:19], vcc, s[18:19]
	v_cndmask_b32_e64 v17, v17, 0, s[18:19]
	v_or_b32_e32 v25, v17, v0
.LBB2_735:                              ;   in Loop: Header=BB2_505 Depth=2
	s_or_b64 exec, exec, s[76:77]
                                        ; implicit-def: $vgpr0
.LBB2_736:                              ;   in Loop: Header=BB2_505 Depth=2
	s_andn2_saveexec_b64 s[18:19], s[74:75]
; %bb.737:                              ;   in Loop: Header=BB2_505 Depth=2
	v_or_b32_e32 v25, 0x7e, v0
; %bb.738:                              ;   in Loop: Header=BB2_505 Depth=2
	s_or_b64 exec, exec, s[18:19]
                                        ; implicit-def: $vgpr17
.LBB2_739:                              ;   in Loop: Header=BB2_505 Depth=2
	s_andn2_saveexec_b64 s[18:19], s[72:73]
; %bb.740:                              ;   in Loop: Header=BB2_505 Depth=2
	v_or_b32_sdwa v25, v17, s39 dst_sel:DWORD dst_unused:UNUSED_PAD src0_sel:BYTE_3 src1_sel:DWORD
; %bb.741:                              ;   in Loop: Header=BB2_505 Depth=2
	s_or_b64 exec, exec, s[18:19]
	v_lshrrev_b16_e32 v17, 8, v19
	v_lshrrev_b16_e32 v0, 8, v40
	v_cmp_ne_u16_e32 vcc, 0, v17
                                        ; implicit-def: $vgpr18
	s_and_saveexec_b64 s[18:19], s[14:15]
	s_xor_b64 s[72:73], exec, s[18:19]
	s_cbranch_execz .LBB2_755
; %bb.742:                              ;   in Loop: Header=BB2_505 Depth=2
	v_mov_b32_e32 v20, 0
	v_mov_b32_e32 v18, 0
	s_and_saveexec_b64 s[74:75], vcc
	s_cbranch_execz .LBB2_748
; %bb.743:                              ;   in Loop: Header=BB2_505 Depth=2
	v_cmp_ne_u16_e64 s[18:19], s38, v17
	v_bfrev_b32_e32 v18, 1
	s_and_saveexec_b64 s[76:77], s[18:19]
	s_cbranch_execz .LBB2_747
; %bb.744:                              ;   in Loop: Header=BB2_505 Depth=2
	v_and_b32_e32 v27, 0x7f, v17
	v_cmp_ne_u32_e64 s[18:19], s39, v27
	v_mov_b32_e32 v18, 0x7f800001
	s_and_saveexec_b64 s[78:79], s[18:19]
	s_cbranch_execz .LBB2_746
; %bb.745:                              ;   in Loop: Header=BB2_505 Depth=2
	v_and_b32_e32 v28, 7, v17
	v_ffbh_u32_e32 v18, v28
	v_lshrrev_b32_e32 v30, 3, v27
	v_cmp_gt_u32_e64 s[18:19], 8, v27
	v_min_u32_e32 v27, 32, v18
	v_subrev_u32_e32 v18, 28, v27
	v_lshlrev_b64 v[17:18], v18, v[17:18]
	v_sub_u32_e32 v18, 29, v27
	v_and_b32_e32 v17, 7, v17
	v_cndmask_b32_e64 v18, v30, v18, s[18:19]
	v_cndmask_b32_e64 v17, v28, v17, s[18:19]
	v_lshlrev_b32_e32 v27, 16, v19
	v_lshlrev_b32_e32 v17, 20, v17
	v_and_b32_e32 v27, 0x80000000, v27
	v_lshl_add_u32 v18, v18, 23, v26
	v_or3_b32 v18, v27, v18, v17
.LBB2_746:                              ;   in Loop: Header=BB2_505 Depth=2
	s_or_b64 exec, exec, s[78:79]
.LBB2_747:                              ;   in Loop: Header=BB2_505 Depth=2
	s_or_b64 exec, exec, s[76:77]
.LBB2_748:                              ;   in Loop: Header=BB2_505 Depth=2
	s_or_b64 exec, exec, s[74:75]
	v_cmp_ne_u16_e64 s[18:19], 0, v0
	s_and_saveexec_b64 s[74:75], s[18:19]
	s_cbranch_execz .LBB2_754
; %bb.749:                              ;   in Loop: Header=BB2_505 Depth=2
	v_cmp_ne_u16_e64 s[18:19], s38, v0
	v_bfrev_b32_e32 v20, 1
	s_and_saveexec_b64 s[76:77], s[18:19]
	s_cbranch_execz .LBB2_753
; %bb.750:                              ;   in Loop: Header=BB2_505 Depth=2
	v_and_b32_e32 v17, 0x7f, v0
	v_cmp_ne_u32_e64 s[18:19], s39, v17
	v_mov_b32_e32 v20, 0x7f800001
	s_and_saveexec_b64 s[78:79], s[18:19]
	s_cbranch_execz .LBB2_752
; %bb.751:                              ;   in Loop: Header=BB2_505 Depth=2
	v_and_b32_e32 v20, 7, v0
	v_lshrrev_b32_e32 v30, 3, v17
	v_cmp_gt_u32_e64 s[18:19], 8, v17
	v_ffbh_u32_e32 v17, v20
	v_min_u32_e32 v17, 32, v17
	v_subrev_u32_e32 v27, 28, v17
	v_lshlrev_b64 v[27:28], v27, v[0:1]
	v_sub_u32_e32 v0, 29, v17
	v_and_b32_e32 v17, 7, v27
	v_cndmask_b32_e64 v0, v30, v0, s[18:19]
	v_cndmask_b32_e64 v17, v20, v17, s[18:19]
	v_lshlrev_b32_e32 v20, 16, v40
	v_lshlrev_b32_e32 v17, 20, v17
	v_and_b32_e32 v20, 0x80000000, v20
	v_lshl_add_u32 v0, v0, 23, v26
	v_or3_b32 v20, v20, v0, v17
.LBB2_752:                              ;   in Loop: Header=BB2_505 Depth=2
	s_or_b64 exec, exec, s[78:79]
.LBB2_753:                              ;   in Loop: Header=BB2_505 Depth=2
	s_or_b64 exec, exec, s[76:77]
.LBB2_754:                              ;   in Loop: Header=BB2_505 Depth=2
	s_or_b64 exec, exec, s[74:75]
	v_max_f32_e32 v0, v20, v20
	v_max_f32_e32 v17, v18, v18
	;; [unrolled: 1-line block ×3, first 2 shown]
                                        ; implicit-def: $vgpr0
                                        ; implicit-def: $vgpr17
.LBB2_755:                              ;   in Loop: Header=BB2_505 Depth=2
	s_andn2_saveexec_b64 s[18:19], s[72:73]
	s_cbranch_execz .LBB2_769
; %bb.756:                              ;   in Loop: Header=BB2_505 Depth=2
	v_mov_b32_e32 v20, 0
	v_mov_b32_e32 v18, 0
	s_and_saveexec_b64 s[72:73], vcc
	s_cbranch_execz .LBB2_762
; %bb.757:                              ;   in Loop: Header=BB2_505 Depth=2
	v_cmp_ne_u16_e32 vcc, s38, v17
	v_bfrev_b32_e32 v18, 1
	s_and_saveexec_b64 s[74:75], vcc
	s_cbranch_execz .LBB2_761
; %bb.758:                              ;   in Loop: Header=BB2_505 Depth=2
	v_and_b32_e32 v27, 0x7f, v17
	v_cmp_ne_u32_e32 vcc, s39, v27
	v_mov_b32_e32 v18, 0x7f800001
	s_and_saveexec_b64 s[76:77], vcc
	s_cbranch_execz .LBB2_760
; %bb.759:                              ;   in Loop: Header=BB2_505 Depth=2
	v_and_b32_e32 v28, 7, v17
	v_ffbh_u32_e32 v18, v28
	v_lshrrev_b32_e32 v30, 3, v27
	v_cmp_gt_u32_e32 vcc, 8, v27
	v_min_u32_e32 v27, 32, v18
	v_subrev_u32_e32 v18, 28, v27
	v_lshlrev_b64 v[17:18], v18, v[17:18]
	v_sub_u32_e32 v18, 29, v27
	v_and_b32_e32 v17, 7, v17
	v_cndmask_b32_e32 v18, v30, v18, vcc
	v_cndmask_b32_e32 v17, v28, v17, vcc
	v_lshlrev_b32_e32 v27, 16, v19
	v_lshlrev_b32_e32 v17, 20, v17
	v_and_b32_e32 v27, 0x80000000, v27
	v_lshl_add_u32 v18, v18, 23, v26
	v_or3_b32 v18, v27, v18, v17
.LBB2_760:                              ;   in Loop: Header=BB2_505 Depth=2
	s_or_b64 exec, exec, s[76:77]
.LBB2_761:                              ;   in Loop: Header=BB2_505 Depth=2
	s_or_b64 exec, exec, s[74:75]
.LBB2_762:                              ;   in Loop: Header=BB2_505 Depth=2
	s_or_b64 exec, exec, s[72:73]
	v_cmp_ne_u16_e32 vcc, 0, v0
	s_and_saveexec_b64 s[72:73], vcc
	s_cbranch_execz .LBB2_768
; %bb.763:                              ;   in Loop: Header=BB2_505 Depth=2
	v_cmp_ne_u16_e32 vcc, s38, v0
	v_bfrev_b32_e32 v20, 1
	s_and_saveexec_b64 s[74:75], vcc
	s_cbranch_execz .LBB2_767
; %bb.764:                              ;   in Loop: Header=BB2_505 Depth=2
	v_and_b32_e32 v17, 0x7f, v0
	v_cmp_ne_u32_e32 vcc, s39, v17
	v_mov_b32_e32 v20, 0x7f800001
	s_and_saveexec_b64 s[76:77], vcc
	s_cbranch_execz .LBB2_766
; %bb.765:                              ;   in Loop: Header=BB2_505 Depth=2
	v_and_b32_e32 v20, 7, v0
	v_lshrrev_b32_e32 v30, 3, v17
	v_cmp_gt_u32_e32 vcc, 8, v17
	v_ffbh_u32_e32 v17, v20
	v_min_u32_e32 v17, 32, v17
	v_subrev_u32_e32 v27, 28, v17
	v_lshlrev_b64 v[27:28], v27, v[0:1]
	v_sub_u32_e32 v0, 29, v17
	v_and_b32_e32 v17, 7, v27
	v_cndmask_b32_e32 v0, v30, v0, vcc
	v_cndmask_b32_e32 v17, v20, v17, vcc
	v_lshlrev_b32_e32 v20, 16, v40
	v_lshlrev_b32_e32 v17, 20, v17
	v_and_b32_e32 v20, 0x80000000, v20
	v_lshl_add_u32 v0, v0, 23, v26
	v_or3_b32 v20, v20, v0, v17
.LBB2_766:                              ;   in Loop: Header=BB2_505 Depth=2
	s_or_b64 exec, exec, s[76:77]
.LBB2_767:                              ;   in Loop: Header=BB2_505 Depth=2
	s_or_b64 exec, exec, s[74:75]
.LBB2_768:                              ;   in Loop: Header=BB2_505 Depth=2
	s_or_b64 exec, exec, s[72:73]
	v_max_f32_e32 v0, v20, v20
	v_max_f32_e32 v17, v18, v18
	v_min_f32_e32 v18, v17, v0
.LBB2_769:                              ;   in Loop: Header=BB2_505 Depth=2
	s_or_b64 exec, exec, s[18:19]
	v_and_b32_e32 v27, 0x7f800000, v18
	v_mov_b32_e32 v28, v41
	v_cmp_ne_u64_e32 vcc, s[56:57], v[27:28]
                                        ; implicit-def: $vgpr30
	s_and_saveexec_b64 s[18:19], vcc
	s_xor_b64 s[72:73], exec, s[18:19]
	s_cbranch_execz .LBB2_783
; %bb.770:                              ;   in Loop: Header=BB2_505 Depth=2
	v_and_b32_e32 v27, 0x7fffffff, v18
	v_mov_b32_e32 v28, v41
	v_cmp_gt_u64_e32 vcc, s[58:59], v[27:28]
	v_and_b32_sdwa v0, v18, s38 dst_sel:DWORD dst_unused:UNUSED_PAD src0_sel:BYTE_3 src1_sel:DWORD
                                        ; implicit-def: $vgpr30
	s_and_saveexec_b64 s[18:19], vcc
	s_xor_b64 s[74:75], exec, s[18:19]
	s_cbranch_execz .LBB2_780
; %bb.771:                              ;   in Loop: Header=BB2_505 Depth=2
	v_mov_b32_e32 v30, 0
	v_cmp_ne_u32_e32 vcc, 0, v18
	s_and_saveexec_b64 s[76:77], vcc
	s_cbranch_execz .LBB2_779
; %bb.772:                              ;   in Loop: Header=BB2_505 Depth=2
	v_bfe_u32 v20, v18, 23, 8
	v_and_b32_e32 v17, 0x7fffff, v18
	v_cmp_gt_u32_e64 s[18:19], s48, v20
	v_sub_u32_e32 v18, 0x79, v20
	v_cmp_eq_u32_e32 vcc, 0, v20
	v_cndmask_b32_e64 v18, 0, v18, s[18:19]
	v_or_b32_e32 v27, 0x800000, v17
	v_cndmask_b32_e32 v30, v18, v7, vcc
	v_cndmask_b32_e32 v17, v27, v17, vcc
	v_add_u32_e32 v27, 20, v30
	v_lshlrev_b64 v[27:28], v27, -1
	v_mov_b32_e32 v18, v41
	v_add_u32_e32 v31, 19, v30
	v_bfi_b32 v27, v27, 0, v17
	v_lshlrev_b64 v[44:45], v31, 1
	v_lshrrev_b64 v[17:18], v30, v[17:18]
	v_bfi_b32 v28, v28, 0, 0
	v_cmp_eq_u64_e64 s[18:19], v[27:28], v[44:45]
	v_mov_b32_e32 v28, v18
	v_mov_b32_e32 v27, v17
	s_and_saveexec_b64 s[78:79], s[18:19]
; %bb.773:                              ;   in Loop: Header=BB2_505 Depth=2
	v_bfe_u32 v18, v17, 20, 1
	v_add_co_u32_e64 v18, s[18:19], v17, v18
	v_add_co_u32_e64 v27, s[18:19], -1, v18
; %bb.774:                              ;   in Loop: Header=BB2_505 Depth=2
	s_or_b64 exec, exec, s[78:79]
	v_add_u32_e32 v18, 0xffffff81, v20
	v_cndmask_b32_e32 v18, v18, v8, vcc
	v_lshrrev_b32_e32 v20, 23, v17
	v_add3_u32 v30, v30, v18, v20
	v_add_u32_e32 v28, 6, v30
	v_and_b32_e32 v18, 0xfffff, v27
	v_add_u32_e32 v17, v18, v17
	v_mov_b32_e32 v18, v41
	v_cmp_ne_u32_e32 vcc, 0, v28
                                        ; implicit-def: $vgpr20
	s_and_saveexec_b64 s[18:19], vcc
	s_xor_b64 s[18:19], exec, s[18:19]
; %bb.775:                              ;   in Loop: Header=BB2_505 Depth=2
	v_cmp_lt_u64_e32 vcc, s[60:61], v[17:18]
	v_add_u32_e32 v20, 7, v30
	v_cndmask_b32_e64 v27, 0, 1, vcc
	v_cndmask_b32_e32 v20, v28, v20, vcc
	v_lshrrev_b64 v[17:18], v27, v[17:18]
; %bb.776:                              ;   in Loop: Header=BB2_505 Depth=2
	s_andn2_saveexec_b64 s[18:19], s[18:19]
; %bb.777:                              ;   in Loop: Header=BB2_505 Depth=2
	v_bfe_u32 v20, v17, 23, 1
; %bb.778:                              ;   in Loop: Header=BB2_505 Depth=2
	s_or_b64 exec, exec, s[18:19]
	v_lshrrev_b64 v[17:18], 20, v[17:18]
	v_cmp_gt_i32_e32 vcc, 16, v20
	v_cndmask_b32_e32 v18, 0, v18, vcc
	v_cndmask_b32_e32 v17, 7, v17, vcc
	v_cmp_eq_u64_e64 s[18:19], 0, v[17:18]
	v_min_i32_e32 v18, 15, v20
	v_lshlrev_b32_e32 v18, 3, v18
	v_cmp_eq_u32_e32 vcc, 0, v20
	v_and_b32_e32 v18, 0xf8, v18
	v_and_or_b32 v17, v17, 7, v18
	s_and_b64 s[18:19], vcc, s[18:19]
	v_cndmask_b32_e64 v17, v17, 0, s[18:19]
	v_or_b32_e32 v30, v17, v0
.LBB2_779:                              ;   in Loop: Header=BB2_505 Depth=2
	s_or_b64 exec, exec, s[76:77]
                                        ; implicit-def: $vgpr0
.LBB2_780:                              ;   in Loop: Header=BB2_505 Depth=2
	s_andn2_saveexec_b64 s[18:19], s[74:75]
; %bb.781:                              ;   in Loop: Header=BB2_505 Depth=2
	v_or_b32_e32 v30, 0x7e, v0
; %bb.782:                              ;   in Loop: Header=BB2_505 Depth=2
	s_or_b64 exec, exec, s[18:19]
                                        ; implicit-def: $vgpr18
.LBB2_783:                              ;   in Loop: Header=BB2_505 Depth=2
	s_andn2_saveexec_b64 s[18:19], s[72:73]
; %bb.784:                              ;   in Loop: Header=BB2_505 Depth=2
	v_or_b32_sdwa v30, v18, s39 dst_sel:DWORD dst_unused:UNUSED_PAD src0_sel:BYTE_3 src1_sel:DWORD
; %bb.785:                              ;   in Loop: Header=BB2_505 Depth=2
	s_or_b64 exec, exec, s[18:19]
	v_lshrrev_b32_e32 v17, 16, v19
	v_lshrrev_b32_e32 v0, 16, v40
	v_cmp_ne_u16_sdwa s[18:19], v17, v41 src0_sel:BYTE_0 src1_sel:DWORD
                                        ; implicit-def: $vgpr18
	s_and_saveexec_b64 s[72:73], s[14:15]
	s_xor_b64 s[72:73], exec, s[72:73]
	s_cbranch_execz .LBB2_799
; %bb.786:                              ;   in Loop: Header=BB2_505 Depth=2
	v_mov_b32_e32 v20, 0
	v_mov_b32_e32 v18, 0
	s_and_saveexec_b64 s[74:75], s[18:19]
	s_cbranch_execz .LBB2_792
; %bb.787:                              ;   in Loop: Header=BB2_505 Depth=2
	v_cmp_ne_u16_sdwa s[78:79], v17, s38 src0_sel:BYTE_0 src1_sel:DWORD
	v_bfrev_b32_e32 v18, 1
	s_and_saveexec_b64 s[76:77], s[78:79]
	s_cbranch_execz .LBB2_791
; %bb.788:                              ;   in Loop: Header=BB2_505 Depth=2
	v_bfe_u32 v27, v19, 16, 7
	v_cmp_ne_u32_e32 vcc, s39, v27
	v_mov_b32_e32 v18, 0x7f800001
	s_and_saveexec_b64 s[78:79], vcc
	s_cbranch_execz .LBB2_790
; %bb.789:                              ;   in Loop: Header=BB2_505 Depth=2
	v_and_b32_e32 v18, 7, v17
	v_lshrrev_b32_e32 v31, 3, v27
	v_cmp_gt_u32_e32 vcc, 8, v27
	v_ffbh_u32_e32 v27, v18
	v_min_u32_e32 v33, 32, v27
	v_subrev_u32_e32 v27, 28, v33
	v_lshlrev_b64 v[27:28], v27, v[17:18]
	v_sub_u32_e32 v28, 29, v33
	v_and_b32_e32 v27, 7, v27
	v_cndmask_b32_e32 v28, v31, v28, vcc
	v_cndmask_b32_e32 v18, v18, v27, vcc
	v_lshlrev_b32_e32 v17, 24, v17
	v_lshlrev_b32_e32 v18, 20, v18
	v_and_b32_e32 v17, 0x80000000, v17
	v_lshl_add_u32 v27, v28, 23, v26
	v_or3_b32 v18, v17, v27, v18
.LBB2_790:                              ;   in Loop: Header=BB2_505 Depth=2
	s_or_b64 exec, exec, s[78:79]
.LBB2_791:                              ;   in Loop: Header=BB2_505 Depth=2
	s_or_b64 exec, exec, s[76:77]
.LBB2_792:                              ;   in Loop: Header=BB2_505 Depth=2
	s_or_b64 exec, exec, s[74:75]
	v_and_b32_sdwa v17, v40, s37 dst_sel:DWORD dst_unused:UNUSED_PAD src0_sel:WORD_1 src1_sel:DWORD
	v_cmp_ne_u16_e32 vcc, 0, v17
	s_and_saveexec_b64 s[74:75], vcc
	s_cbranch_execz .LBB2_798
; %bb.793:                              ;   in Loop: Header=BB2_505 Depth=2
	v_cmp_ne_u16_e32 vcc, s38, v17
	v_bfrev_b32_e32 v20, 1
	s_and_saveexec_b64 s[76:77], vcc
	s_cbranch_execz .LBB2_797
; %bb.794:                              ;   in Loop: Header=BB2_505 Depth=2
	v_bfe_u32 v17, v40, 16, 7
	v_cmp_ne_u32_e32 vcc, s39, v17
	v_mov_b32_e32 v20, 0x7f800001
	s_and_saveexec_b64 s[78:79], vcc
	s_cbranch_execz .LBB2_796
; %bb.795:                              ;   in Loop: Header=BB2_505 Depth=2
	v_and_b32_e32 v20, 7, v0
	v_lshrrev_b32_e32 v31, 3, v17
	v_cmp_gt_u32_e32 vcc, 8, v17
	v_ffbh_u32_e32 v17, v20
	v_min_u32_e32 v17, 32, v17
	v_subrev_u32_e32 v27, 28, v17
	v_lshlrev_b64 v[27:28], v27, v[0:1]
	v_sub_u32_e32 v0, 29, v17
	v_and_b32_e32 v17, 7, v27
	v_cndmask_b32_e32 v0, v31, v0, vcc
	v_cndmask_b32_e32 v17, v20, v17, vcc
	v_lshlrev_b32_sdwa v20, v54, v40 dst_sel:DWORD dst_unused:UNUSED_PAD src0_sel:DWORD src1_sel:WORD_1
	v_lshlrev_b32_e32 v17, 20, v17
	v_and_b32_e32 v20, 0x80000000, v20
	v_lshl_add_u32 v0, v0, 23, v26
	v_or3_b32 v20, v20, v0, v17
.LBB2_796:                              ;   in Loop: Header=BB2_505 Depth=2
	s_or_b64 exec, exec, s[78:79]
.LBB2_797:                              ;   in Loop: Header=BB2_505 Depth=2
	s_or_b64 exec, exec, s[76:77]
.LBB2_798:                              ;   in Loop: Header=BB2_505 Depth=2
	s_or_b64 exec, exec, s[74:75]
	v_max_f32_e32 v0, v20, v20
	v_max_f32_e32 v17, v18, v18
	;; [unrolled: 1-line block ×3, first 2 shown]
                                        ; implicit-def: $vgpr17
                                        ; implicit-def: $vgpr0
.LBB2_799:                              ;   in Loop: Header=BB2_505 Depth=2
	s_andn2_saveexec_b64 s[72:73], s[72:73]
	s_cbranch_execz .LBB2_813
; %bb.800:                              ;   in Loop: Header=BB2_505 Depth=2
	v_mov_b32_e32 v20, 0
	v_mov_b32_e32 v18, 0
	s_and_saveexec_b64 s[74:75], s[18:19]
	s_cbranch_execz .LBB2_806
; %bb.801:                              ;   in Loop: Header=BB2_505 Depth=2
	v_cmp_ne_u16_sdwa s[76:77], v17, s38 src0_sel:BYTE_0 src1_sel:DWORD
	v_bfrev_b32_e32 v18, 1
	s_and_saveexec_b64 s[18:19], s[76:77]
	s_cbranch_execz .LBB2_805
; %bb.802:                              ;   in Loop: Header=BB2_505 Depth=2
	v_bfe_u32 v27, v19, 16, 7
	v_cmp_ne_u32_e32 vcc, s39, v27
	v_mov_b32_e32 v18, 0x7f800001
	s_and_saveexec_b64 s[76:77], vcc
	s_cbranch_execz .LBB2_804
; %bb.803:                              ;   in Loop: Header=BB2_505 Depth=2
	v_and_b32_e32 v18, 7, v17
	v_lshrrev_b32_e32 v31, 3, v27
	v_cmp_gt_u32_e32 vcc, 8, v27
	v_ffbh_u32_e32 v27, v18
	v_min_u32_e32 v33, 32, v27
	v_subrev_u32_e32 v27, 28, v33
	v_lshlrev_b64 v[27:28], v27, v[17:18]
	v_sub_u32_e32 v28, 29, v33
	v_and_b32_e32 v27, 7, v27
	v_cndmask_b32_e32 v28, v31, v28, vcc
	v_cndmask_b32_e32 v18, v18, v27, vcc
	v_lshlrev_b32_e32 v17, 24, v17
	v_lshlrev_b32_e32 v18, 20, v18
	v_and_b32_e32 v17, 0x80000000, v17
	v_lshl_add_u32 v27, v28, 23, v26
	v_or3_b32 v18, v17, v27, v18
.LBB2_804:                              ;   in Loop: Header=BB2_505 Depth=2
	s_or_b64 exec, exec, s[76:77]
.LBB2_805:                              ;   in Loop: Header=BB2_505 Depth=2
	s_or_b64 exec, exec, s[18:19]
.LBB2_806:                              ;   in Loop: Header=BB2_505 Depth=2
	s_or_b64 exec, exec, s[74:75]
	v_and_b32_sdwa v17, v40, s37 dst_sel:DWORD dst_unused:UNUSED_PAD src0_sel:WORD_1 src1_sel:DWORD
	v_cmp_ne_u16_e32 vcc, 0, v17
	s_and_saveexec_b64 s[18:19], vcc
	s_cbranch_execz .LBB2_812
; %bb.807:                              ;   in Loop: Header=BB2_505 Depth=2
	v_cmp_ne_u16_e32 vcc, s38, v17
	v_bfrev_b32_e32 v20, 1
	s_and_saveexec_b64 s[74:75], vcc
	s_cbranch_execz .LBB2_811
; %bb.808:                              ;   in Loop: Header=BB2_505 Depth=2
	v_bfe_u32 v17, v40, 16, 7
	v_cmp_ne_u32_e32 vcc, s39, v17
	v_mov_b32_e32 v20, 0x7f800001
	s_and_saveexec_b64 s[76:77], vcc
	s_cbranch_execz .LBB2_810
; %bb.809:                              ;   in Loop: Header=BB2_505 Depth=2
	v_and_b32_e32 v20, 7, v0
	v_lshrrev_b32_e32 v31, 3, v17
	v_cmp_gt_u32_e32 vcc, 8, v17
	v_ffbh_u32_e32 v17, v20
	v_min_u32_e32 v17, 32, v17
	v_subrev_u32_e32 v27, 28, v17
	v_lshlrev_b64 v[27:28], v27, v[0:1]
	v_sub_u32_e32 v0, 29, v17
	v_and_b32_e32 v17, 7, v27
	v_cndmask_b32_e32 v0, v31, v0, vcc
	v_cndmask_b32_e32 v17, v20, v17, vcc
	v_lshlrev_b32_sdwa v20, v54, v40 dst_sel:DWORD dst_unused:UNUSED_PAD src0_sel:DWORD src1_sel:WORD_1
	v_lshlrev_b32_e32 v17, 20, v17
	v_and_b32_e32 v20, 0x80000000, v20
	v_lshl_add_u32 v0, v0, 23, v26
	v_or3_b32 v20, v20, v0, v17
.LBB2_810:                              ;   in Loop: Header=BB2_505 Depth=2
	s_or_b64 exec, exec, s[76:77]
.LBB2_811:                              ;   in Loop: Header=BB2_505 Depth=2
	s_or_b64 exec, exec, s[74:75]
.LBB2_812:                              ;   in Loop: Header=BB2_505 Depth=2
	s_or_b64 exec, exec, s[18:19]
	v_max_f32_e32 v0, v20, v20
	v_max_f32_e32 v17, v18, v18
	v_min_f32_e32 v18, v17, v0
.LBB2_813:                              ;   in Loop: Header=BB2_505 Depth=2
	s_or_b64 exec, exec, s[72:73]
	v_and_b32_e32 v27, 0x7f800000, v18
	v_mov_b32_e32 v28, v41
	v_cmp_ne_u64_e32 vcc, s[56:57], v[27:28]
                                        ; implicit-def: $vgpr27
	s_and_saveexec_b64 s[18:19], vcc
	s_xor_b64 s[72:73], exec, s[18:19]
	s_cbranch_execz .LBB2_827
; %bb.814:                              ;   in Loop: Header=BB2_505 Depth=2
	v_and_b32_e32 v27, 0x7fffffff, v18
	v_mov_b32_e32 v28, v41
	v_cmp_gt_u64_e32 vcc, s[58:59], v[27:28]
	v_and_b32_sdwa v0, v18, s38 dst_sel:DWORD dst_unused:UNUSED_PAD src0_sel:BYTE_3 src1_sel:DWORD
                                        ; implicit-def: $vgpr27
	s_and_saveexec_b64 s[18:19], vcc
	s_xor_b64 s[74:75], exec, s[18:19]
	s_cbranch_execz .LBB2_824
; %bb.815:                              ;   in Loop: Header=BB2_505 Depth=2
	v_mov_b32_e32 v27, 0
	v_cmp_ne_u32_e32 vcc, 0, v18
	s_and_saveexec_b64 s[76:77], vcc
	s_cbranch_execz .LBB2_823
; %bb.816:                              ;   in Loop: Header=BB2_505 Depth=2
	v_bfe_u32 v20, v18, 23, 8
	v_and_b32_e32 v17, 0x7fffff, v18
	v_cmp_gt_u32_e64 s[18:19], s48, v20
	v_sub_u32_e32 v18, 0x79, v20
	v_cmp_eq_u32_e32 vcc, 0, v20
	v_cndmask_b32_e64 v18, 0, v18, s[18:19]
	v_or_b32_e32 v27, 0x800000, v17
	v_cndmask_b32_e32 v31, v18, v7, vcc
	v_cndmask_b32_e32 v17, v27, v17, vcc
	v_add_u32_e32 v27, 20, v31
	v_lshlrev_b64 v[27:28], v27, -1
	v_mov_b32_e32 v18, v41
	v_add_u32_e32 v33, 19, v31
	v_bfi_b32 v27, v27, 0, v17
	v_lshlrev_b64 v[44:45], v33, 1
	v_lshrrev_b64 v[17:18], v31, v[17:18]
	v_bfi_b32 v28, v28, 0, 0
	v_cmp_eq_u64_e64 s[18:19], v[27:28], v[44:45]
	v_mov_b32_e32 v28, v18
	v_mov_b32_e32 v27, v17
	s_and_saveexec_b64 s[78:79], s[18:19]
; %bb.817:                              ;   in Loop: Header=BB2_505 Depth=2
	v_bfe_u32 v18, v17, 20, 1
	v_add_co_u32_e64 v18, s[18:19], v17, v18
	v_add_co_u32_e64 v27, s[18:19], -1, v18
; %bb.818:                              ;   in Loop: Header=BB2_505 Depth=2
	s_or_b64 exec, exec, s[78:79]
	v_add_u32_e32 v18, 0xffffff81, v20
	v_cndmask_b32_e32 v18, v18, v8, vcc
	v_lshrrev_b32_e32 v20, 23, v17
	v_add3_u32 v31, v31, v18, v20
	v_add_u32_e32 v28, 6, v31
	v_and_b32_e32 v18, 0xfffff, v27
	v_add_u32_e32 v17, v18, v17
	v_mov_b32_e32 v18, v41
	v_cmp_ne_u32_e32 vcc, 0, v28
                                        ; implicit-def: $vgpr20
	s_and_saveexec_b64 s[18:19], vcc
	s_xor_b64 s[18:19], exec, s[18:19]
; %bb.819:                              ;   in Loop: Header=BB2_505 Depth=2
	v_cmp_lt_u64_e32 vcc, s[60:61], v[17:18]
	v_add_u32_e32 v20, 7, v31
	v_cndmask_b32_e64 v27, 0, 1, vcc
	v_cndmask_b32_e32 v20, v28, v20, vcc
	v_lshrrev_b64 v[17:18], v27, v[17:18]
; %bb.820:                              ;   in Loop: Header=BB2_505 Depth=2
	s_andn2_saveexec_b64 s[18:19], s[18:19]
; %bb.821:                              ;   in Loop: Header=BB2_505 Depth=2
	v_bfe_u32 v20, v17, 23, 1
; %bb.822:                              ;   in Loop: Header=BB2_505 Depth=2
	s_or_b64 exec, exec, s[18:19]
	v_lshrrev_b64 v[17:18], 20, v[17:18]
	v_cmp_gt_i32_e32 vcc, 16, v20
	v_cndmask_b32_e32 v18, 0, v18, vcc
	v_cndmask_b32_e32 v17, 7, v17, vcc
	v_cmp_eq_u64_e64 s[18:19], 0, v[17:18]
	v_min_i32_e32 v18, 15, v20
	v_lshlrev_b32_e32 v18, 3, v18
	v_cmp_eq_u32_e32 vcc, 0, v20
	v_and_b32_e32 v18, 0xf8, v18
	v_and_or_b32 v17, v17, 7, v18
	s_and_b64 s[18:19], vcc, s[18:19]
	v_cndmask_b32_e64 v17, v17, 0, s[18:19]
	v_or_b32_e32 v27, v17, v0
.LBB2_823:                              ;   in Loop: Header=BB2_505 Depth=2
	s_or_b64 exec, exec, s[76:77]
                                        ; implicit-def: $vgpr0
.LBB2_824:                              ;   in Loop: Header=BB2_505 Depth=2
	s_andn2_saveexec_b64 s[18:19], s[74:75]
; %bb.825:                              ;   in Loop: Header=BB2_505 Depth=2
	v_or_b32_e32 v27, 0x7e, v0
; %bb.826:                              ;   in Loop: Header=BB2_505 Depth=2
	s_or_b64 exec, exec, s[18:19]
                                        ; implicit-def: $vgpr18
.LBB2_827:                              ;   in Loop: Header=BB2_505 Depth=2
	s_andn2_saveexec_b64 s[18:19], s[72:73]
; %bb.828:                              ;   in Loop: Header=BB2_505 Depth=2
	v_or_b32_sdwa v27, v18, s39 dst_sel:DWORD dst_unused:UNUSED_PAD src0_sel:BYTE_3 src1_sel:DWORD
; %bb.829:                              ;   in Loop: Header=BB2_505 Depth=2
	s_or_b64 exec, exec, s[18:19]
	v_and_b32_e32 v44, 0xff000000, v19
	v_mov_b32_e32 v45, v41
	v_cmp_ne_u64_e32 vcc, 0, v[44:45]
	v_lshrrev_b32_e32 v17, 24, v19
	v_lshrrev_b32_e32 v0, 24, v40
                                        ; implicit-def: $vgpr18
	s_and_saveexec_b64 s[18:19], s[14:15]
	s_xor_b64 s[72:73], exec, s[18:19]
	s_cbranch_execz .LBB2_843
; %bb.830:                              ;   in Loop: Header=BB2_505 Depth=2
	v_mov_b32_e32 v20, 0
	v_mov_b32_e32 v18, 0
	s_and_saveexec_b64 s[74:75], vcc
	s_cbranch_execz .LBB2_836
; %bb.831:                              ;   in Loop: Header=BB2_505 Depth=2
	v_cmp_ne_u32_e64 s[18:19], s38, v17
	v_bfrev_b32_e32 v18, 1
	s_and_saveexec_b64 s[76:77], s[18:19]
	s_cbranch_execz .LBB2_835
; %bb.832:                              ;   in Loop: Header=BB2_505 Depth=2
	v_bfe_u32 v19, v19, 24, 7
	v_cmp_ne_u32_e64 s[18:19], s39, v19
	v_mov_b32_e32 v18, 0x7f800001
	s_and_saveexec_b64 s[78:79], s[18:19]
	s_cbranch_execz .LBB2_834
; %bb.833:                              ;   in Loop: Header=BB2_505 Depth=2
	v_and_b32_e32 v28, 7, v17
	v_ffbh_u32_e32 v18, v28
	v_min_u32_e32 v33, 32, v18
	v_subrev_u32_e32 v18, 28, v33
	v_lshrrev_b32_e32 v31, 3, v19
	v_cmp_gt_u32_e64 s[18:19], 8, v19
	v_lshlrev_b64 v[18:19], v18, v[17:18]
	v_sub_u32_e32 v19, 29, v33
	v_and_b32_e32 v18, 7, v18
	v_cndmask_b32_e64 v19, v31, v19, s[18:19]
	v_cndmask_b32_e64 v18, v28, v18, s[18:19]
	v_lshlrev_b32_e32 v17, 24, v17
	v_lshlrev_b32_e32 v18, 20, v18
	v_and_b32_e32 v17, 0x80000000, v17
	v_lshl_add_u32 v19, v19, 23, v26
	v_or3_b32 v18, v17, v19, v18
.LBB2_834:                              ;   in Loop: Header=BB2_505 Depth=2
	s_or_b64 exec, exec, s[78:79]
.LBB2_835:                              ;   in Loop: Header=BB2_505 Depth=2
	s_or_b64 exec, exec, s[76:77]
.LBB2_836:                              ;   in Loop: Header=BB2_505 Depth=2
	s_or_b64 exec, exec, s[74:75]
	v_cmp_lt_u32_e64 s[18:19], s49, v40
	s_and_saveexec_b64 s[74:75], s[18:19]
	s_cbranch_execz .LBB2_842
; %bb.837:                              ;   in Loop: Header=BB2_505 Depth=2
	v_cmp_ne_u32_sdwa s[18:19], v40, s38 src0_sel:BYTE_3 src1_sel:DWORD
	v_bfrev_b32_e32 v20, 1
	s_and_saveexec_b64 s[76:77], s[18:19]
	s_cbranch_execz .LBB2_841
; %bb.838:                              ;   in Loop: Header=BB2_505 Depth=2
	v_bfe_u32 v17, v40, 24, 7
	v_cmp_ne_u32_e64 s[18:19], s39, v17
	v_mov_b32_e32 v20, 0x7f800001
	s_and_saveexec_b64 s[78:79], s[18:19]
	s_cbranch_execz .LBB2_840
; %bb.839:                              ;   in Loop: Header=BB2_505 Depth=2
	v_and_b32_e32 v28, 7, v0
	v_lshrrev_b32_e32 v31, 3, v17
	v_cmp_gt_u32_e64 s[18:19], 8, v17
	v_ffbh_u32_e32 v17, v28
	v_min_u32_e32 v17, 32, v17
	v_subrev_u32_e32 v19, 28, v17
	v_lshlrev_b64 v[19:20], v19, v[0:1]
	v_sub_u32_e32 v0, 29, v17
	v_and_b32_e32 v17, 7, v19
	v_cndmask_b32_e64 v0, v31, v0, s[18:19]
	v_cndmask_b32_e64 v17, v28, v17, s[18:19]
	v_lshlrev_b32_sdwa v19, v54, v40 dst_sel:DWORD dst_unused:UNUSED_PAD src0_sel:DWORD src1_sel:BYTE_3
	v_lshlrev_b32_e32 v17, 20, v17
	v_and_b32_e32 v19, 0x80000000, v19
	v_lshl_add_u32 v0, v0, 23, v26
	v_or3_b32 v20, v19, v0, v17
.LBB2_840:                              ;   in Loop: Header=BB2_505 Depth=2
	s_or_b64 exec, exec, s[78:79]
.LBB2_841:                              ;   in Loop: Header=BB2_505 Depth=2
	s_or_b64 exec, exec, s[76:77]
.LBB2_842:                              ;   in Loop: Header=BB2_505 Depth=2
	s_or_b64 exec, exec, s[74:75]
	v_max_f32_e32 v0, v20, v20
	v_max_f32_e32 v17, v18, v18
	v_max_f32_e32 v18, v17, v0
                                        ; implicit-def: $vgpr17
                                        ; implicit-def: $vgpr0
                                        ; implicit-def: $vgpr19_vgpr20
.LBB2_843:                              ;   in Loop: Header=BB2_505 Depth=2
	s_andn2_saveexec_b64 s[18:19], s[72:73]
	s_cbranch_execz .LBB2_857
; %bb.844:                              ;   in Loop: Header=BB2_505 Depth=2
	v_mov_b32_e32 v20, 0
	v_mov_b32_e32 v18, 0
	s_and_saveexec_b64 s[72:73], vcc
	s_cbranch_execz .LBB2_850
; %bb.845:                              ;   in Loop: Header=BB2_505 Depth=2
	v_cmp_ne_u32_e32 vcc, s38, v17
	v_bfrev_b32_e32 v18, 1
	s_and_saveexec_b64 s[74:75], vcc
	s_cbranch_execz .LBB2_849
; %bb.846:                              ;   in Loop: Header=BB2_505 Depth=2
	v_bfe_u32 v19, v19, 24, 7
	v_cmp_ne_u32_e32 vcc, s39, v19
	v_mov_b32_e32 v18, 0x7f800001
	s_and_saveexec_b64 s[76:77], vcc
	s_cbranch_execz .LBB2_848
; %bb.847:                              ;   in Loop: Header=BB2_505 Depth=2
	v_and_b32_e32 v28, 7, v17
	v_ffbh_u32_e32 v18, v28
	v_min_u32_e32 v33, 32, v18
	v_subrev_u32_e32 v18, 28, v33
	v_lshrrev_b32_e32 v31, 3, v19
	v_cmp_gt_u32_e32 vcc, 8, v19
	v_lshlrev_b64 v[18:19], v18, v[17:18]
	v_sub_u32_e32 v19, 29, v33
	v_and_b32_e32 v18, 7, v18
	v_cndmask_b32_e32 v19, v31, v19, vcc
	v_cndmask_b32_e32 v18, v28, v18, vcc
	v_lshlrev_b32_e32 v17, 24, v17
	v_lshlrev_b32_e32 v18, 20, v18
	v_and_b32_e32 v17, 0x80000000, v17
	v_lshl_add_u32 v19, v19, 23, v26
	v_or3_b32 v18, v17, v19, v18
.LBB2_848:                              ;   in Loop: Header=BB2_505 Depth=2
	s_or_b64 exec, exec, s[76:77]
.LBB2_849:                              ;   in Loop: Header=BB2_505 Depth=2
	s_or_b64 exec, exec, s[74:75]
.LBB2_850:                              ;   in Loop: Header=BB2_505 Depth=2
	s_or_b64 exec, exec, s[72:73]
	v_cmp_lt_u32_e32 vcc, s49, v40
	s_and_saveexec_b64 s[72:73], vcc
	s_cbranch_execz .LBB2_856
; %bb.851:                              ;   in Loop: Header=BB2_505 Depth=2
	v_cmp_ne_u32_sdwa s[76:77], v40, s38 src0_sel:BYTE_3 src1_sel:DWORD
	v_bfrev_b32_e32 v20, 1
	s_and_saveexec_b64 s[74:75], s[76:77]
	s_cbranch_execz .LBB2_855
; %bb.852:                              ;   in Loop: Header=BB2_505 Depth=2
	v_bfe_u32 v17, v40, 24, 7
	v_cmp_ne_u32_e32 vcc, s39, v17
	v_mov_b32_e32 v20, 0x7f800001
	s_and_saveexec_b64 s[76:77], vcc
	s_cbranch_execz .LBB2_854
; %bb.853:                              ;   in Loop: Header=BB2_505 Depth=2
	v_and_b32_e32 v28, 7, v0
	v_lshrrev_b32_e32 v31, 3, v17
	v_cmp_gt_u32_e32 vcc, 8, v17
	v_ffbh_u32_e32 v17, v28
	v_min_u32_e32 v17, 32, v17
	v_subrev_u32_e32 v19, 28, v17
	v_lshlrev_b64 v[19:20], v19, v[0:1]
	v_sub_u32_e32 v0, 29, v17
	v_and_b32_e32 v17, 7, v19
	v_cndmask_b32_e32 v0, v31, v0, vcc
	v_cndmask_b32_e32 v17, v28, v17, vcc
	v_lshlrev_b32_sdwa v19, v54, v40 dst_sel:DWORD dst_unused:UNUSED_PAD src0_sel:DWORD src1_sel:BYTE_3
	v_lshlrev_b32_e32 v17, 20, v17
	v_and_b32_e32 v19, 0x80000000, v19
	v_lshl_add_u32 v0, v0, 23, v26
	v_or3_b32 v20, v19, v0, v17
.LBB2_854:                              ;   in Loop: Header=BB2_505 Depth=2
	s_or_b64 exec, exec, s[76:77]
.LBB2_855:                              ;   in Loop: Header=BB2_505 Depth=2
	s_or_b64 exec, exec, s[74:75]
.LBB2_856:                              ;   in Loop: Header=BB2_505 Depth=2
	s_or_b64 exec, exec, s[72:73]
	v_max_f32_e32 v0, v20, v20
	v_max_f32_e32 v17, v18, v18
	v_min_f32_e32 v18, v17, v0
.LBB2_857:                              ;   in Loop: Header=BB2_505 Depth=2
	s_or_b64 exec, exec, s[18:19]
	v_and_b32_e32 v40, 0x7f800000, v18
	v_cmp_ne_u64_e32 vcc, s[56:57], v[40:41]
                                        ; implicit-def: $vgpr19
	s_and_saveexec_b64 s[18:19], vcc
	s_xor_b64 s[72:73], exec, s[18:19]
	s_cbranch_execz .LBB2_871
; %bb.858:                              ;   in Loop: Header=BB2_505 Depth=2
	v_and_b32_e32 v40, 0x7fffffff, v18
	v_cmp_gt_u64_e32 vcc, s[58:59], v[40:41]
	v_and_b32_sdwa v0, v18, s38 dst_sel:DWORD dst_unused:UNUSED_PAD src0_sel:BYTE_3 src1_sel:DWORD
                                        ; implicit-def: $vgpr19
	s_and_saveexec_b64 s[18:19], vcc
	s_xor_b64 s[74:75], exec, s[18:19]
	s_cbranch_execz .LBB2_868
; %bb.859:                              ;   in Loop: Header=BB2_505 Depth=2
	v_mov_b32_e32 v19, 0
	v_cmp_ne_u32_e32 vcc, 0, v18
	s_and_saveexec_b64 s[76:77], vcc
	s_cbranch_execz .LBB2_867
; %bb.860:                              ;   in Loop: Header=BB2_505 Depth=2
	v_bfe_u32 v20, v18, 23, 8
	v_and_b32_e32 v17, 0x7fffff, v18
	v_cmp_gt_u32_e64 s[18:19], s48, v20
	v_sub_u32_e32 v18, 0x79, v20
	v_cmp_eq_u32_e32 vcc, 0, v20
	v_cndmask_b32_e64 v18, 0, v18, s[18:19]
	v_or_b32_e32 v19, 0x800000, v17
	v_cndmask_b32_e32 v28, v18, v7, vcc
	v_cndmask_b32_e32 v40, v19, v17, vcc
	v_add_u32_e32 v17, 20, v28
	v_lshlrev_b64 v[17:18], v17, -1
	v_add_u32_e32 v19, 19, v28
	v_lshlrev_b64 v[44:45], v19, 1
	v_bfi_b32 v18, v18, 0, 0
	v_bfi_b32 v17, v17, 0, v40
	v_cmp_eq_u64_e64 s[18:19], v[17:18], v[44:45]
	v_lshrrev_b64 v[17:18], v28, v[40:41]
	v_mov_b32_e32 v19, v18
	v_mov_b32_e32 v18, v17
	s_and_saveexec_b64 s[78:79], s[18:19]
; %bb.861:                              ;   in Loop: Header=BB2_505 Depth=2
	v_bfe_u32 v18, v17, 20, 1
	v_add_co_u32_e64 v18, s[18:19], v17, v18
	v_add_co_u32_e64 v18, s[18:19], -1, v18
; %bb.862:                              ;   in Loop: Header=BB2_505 Depth=2
	s_or_b64 exec, exec, s[78:79]
	v_add_u32_e32 v19, 0xffffff81, v20
	v_cndmask_b32_e32 v19, v19, v8, vcc
	v_lshrrev_b32_e32 v20, 23, v17
	v_add3_u32 v28, v28, v19, v20
	v_add_u32_e32 v20, 6, v28
	v_and_b32_e32 v18, 0xfffff, v18
	v_add_u32_e32 v40, v18, v17
	v_cmp_ne_u32_e32 vcc, 0, v20
                                        ; implicit-def: $vgpr17_vgpr18
                                        ; implicit-def: $vgpr19
	s_and_saveexec_b64 s[18:19], vcc
	s_xor_b64 s[18:19], exec, s[18:19]
; %bb.863:                              ;   in Loop: Header=BB2_505 Depth=2
	v_cmp_lt_u64_e32 vcc, s[60:61], v[40:41]
	v_add_u32_e32 v17, 7, v28
	v_cndmask_b32_e32 v19, v20, v17, vcc
	v_cndmask_b32_e64 v17, 0, 1, vcc
	v_lshrrev_b64 v[17:18], v17, v[40:41]
; %bb.864:                              ;   in Loop: Header=BB2_505 Depth=2
	s_andn2_saveexec_b64 s[18:19], s[18:19]
; %bb.865:                              ;   in Loop: Header=BB2_505 Depth=2
	v_mov_b32_e32 v17, v40
	v_bfe_u32 v19, v40, 23, 1
	v_mov_b32_e32 v18, v41
; %bb.866:                              ;   in Loop: Header=BB2_505 Depth=2
	s_or_b64 exec, exec, s[18:19]
	v_lshrrev_b64 v[17:18], 20, v[17:18]
	v_cmp_gt_i32_e32 vcc, 16, v19
	v_cndmask_b32_e32 v18, 0, v18, vcc
	v_cndmask_b32_e32 v17, 7, v17, vcc
	v_cmp_eq_u64_e64 s[18:19], 0, v[17:18]
	v_min_i32_e32 v18, 15, v19
	v_lshlrev_b32_e32 v18, 3, v18
	v_cmp_eq_u32_e32 vcc, 0, v19
	v_and_b32_e32 v18, 0xf8, v18
	v_and_or_b32 v17, v17, 7, v18
	s_and_b64 s[18:19], vcc, s[18:19]
	v_cndmask_b32_e64 v17, v17, 0, s[18:19]
	v_or_b32_e32 v19, v17, v0
.LBB2_867:                              ;   in Loop: Header=BB2_505 Depth=2
	s_or_b64 exec, exec, s[76:77]
                                        ; implicit-def: $vgpr0
.LBB2_868:                              ;   in Loop: Header=BB2_505 Depth=2
	s_andn2_saveexec_b64 s[18:19], s[74:75]
; %bb.869:                              ;   in Loop: Header=BB2_505 Depth=2
	v_or_b32_e32 v19, 0x7e, v0
; %bb.870:                              ;   in Loop: Header=BB2_505 Depth=2
	s_or_b64 exec, exec, s[18:19]
                                        ; implicit-def: $vgpr18
.LBB2_871:                              ;   in Loop: Header=BB2_505 Depth=2
	s_andn2_saveexec_b64 s[18:19], s[72:73]
; %bb.872:                              ;   in Loop: Header=BB2_505 Depth=2
	v_or_b32_sdwa v19, v18, s39 dst_sel:DWORD dst_unused:UNUSED_PAD src0_sel:BYTE_3 src1_sel:DWORD
; %bb.873:                              ;   in Loop: Header=BB2_505 Depth=2
	s_or_b64 exec, exec, s[18:19]
	v_lshlrev_b32_e32 v0, 16, v11
	v_lshlrev_b32_e32 v11, 24, v29
	v_lshl_or_b32 v0, v10, 8, v0
	v_lshlrev_b32_e32 v10, 16, v27
	v_or3_b32 v17, v0, v11, v9
	v_lshlrev_b32_e32 v0, 24, v19
	v_lshl_or_b32 v10, v30, 8, v10
	v_cmp_lt_u32_e32 vcc, 7, v32
	v_or3_b32 v18, v10, v0, v25
	s_cmp_lg_u64 vcc, exec
	s_mov_b64 s[18:19], -1
	s_cbranch_scc0 .LBB2_883
; %bb.874:                              ;   in Loop: Header=BB2_505 Depth=2
	v_cmp_ne_u32_e64 s[18:19], 1, v32
	flat_store_byte v[46:47], v9
	s_and_saveexec_b64 s[72:73], s[18:19]
	s_cbranch_execz .LBB2_885
; %bb.875:                              ;   in Loop: Header=BB2_505 Depth=2
	v_lshrrev_b32_e32 v0, 8, v17
	flat_store_byte v[46:47], v0 offset:1
	s_or_b64 exec, exec, s[72:73]
	v_cmp_lt_u32_e64 s[18:19], 2, v32
	s_and_saveexec_b64 s[72:73], s[18:19]
	s_cbranch_execnz .LBB2_886
.LBB2_876:                              ;   in Loop: Header=BB2_505 Depth=2
	s_or_b64 exec, exec, s[72:73]
	v_cmp_lt_u32_e64 s[18:19], 3, v32
	s_and_saveexec_b64 s[72:73], s[18:19]
	s_cbranch_execz .LBB2_887
.LBB2_877:                              ;   in Loop: Header=BB2_505 Depth=2
	v_lshrrev_b32_e32 v0, 24, v17
	flat_store_byte v[46:47], v0 offset:3
	s_or_b64 exec, exec, s[72:73]
	v_cmp_lt_u32_e64 s[18:19], 4, v32
	s_and_saveexec_b64 s[72:73], s[18:19]
	s_cbranch_execnz .LBB2_888
.LBB2_878:                              ;   in Loop: Header=BB2_505 Depth=2
	s_or_b64 exec, exec, s[72:73]
	v_cmp_lt_u32_e64 s[18:19], 5, v32
	s_and_saveexec_b64 s[72:73], s[18:19]
	s_cbranch_execz .LBB2_889
.LBB2_879:                              ;   in Loop: Header=BB2_505 Depth=2
	v_lshrrev_b32_e32 v0, 8, v18
	flat_store_byte v[46:47], v0 offset:5
	s_or_b64 exec, exec, s[72:73]
	v_cmp_lt_u32_e64 s[18:19], 6, v32
	s_and_saveexec_b64 s[72:73], s[18:19]
	s_cbranch_execnz .LBB2_890
.LBB2_880:                              ;   in Loop: Header=BB2_505 Depth=2
	s_or_b64 exec, exec, s[72:73]
	s_and_saveexec_b64 s[18:19], vcc
	s_cbranch_execz .LBB2_882
.LBB2_881:                              ;   in Loop: Header=BB2_505 Depth=2
	v_lshrrev_b32_e32 v0, 24, v18
	flat_store_byte v[46:47], v0 offset:7
.LBB2_882:                              ;   in Loop: Header=BB2_505 Depth=2
	s_or_b64 exec, exec, s[18:19]
	s_mov_b64 s[18:19], 0
.LBB2_883:                              ;   in Loop: Header=BB2_505 Depth=2
	s_and_b64 vcc, exec, s[18:19]
	s_cbranch_vccz .LBB2_504
; %bb.884:                              ;   in Loop: Header=BB2_505 Depth=2
	global_store_dwordx2 v[46:47], v[17:18], off
	s_branch .LBB2_504
.LBB2_885:                              ;   in Loop: Header=BB2_505 Depth=2
	s_or_b64 exec, exec, s[72:73]
	v_cmp_lt_u32_e64 s[18:19], 2, v32
	s_and_saveexec_b64 s[72:73], s[18:19]
	s_cbranch_execz .LBB2_876
.LBB2_886:                              ;   in Loop: Header=BB2_505 Depth=2
	flat_store_byte_d16_hi v[46:47], v17 offset:2
	s_or_b64 exec, exec, s[72:73]
	v_cmp_lt_u32_e64 s[18:19], 3, v32
	s_and_saveexec_b64 s[72:73], s[18:19]
	s_cbranch_execnz .LBB2_877
.LBB2_887:                              ;   in Loop: Header=BB2_505 Depth=2
	s_or_b64 exec, exec, s[72:73]
	v_cmp_lt_u32_e64 s[18:19], 4, v32
	s_and_saveexec_b64 s[72:73], s[18:19]
	s_cbranch_execz .LBB2_878
.LBB2_888:                              ;   in Loop: Header=BB2_505 Depth=2
	flat_store_byte v[46:47], v25 offset:4
	s_or_b64 exec, exec, s[72:73]
	v_cmp_lt_u32_e64 s[18:19], 5, v32
	s_and_saveexec_b64 s[72:73], s[18:19]
	s_cbranch_execnz .LBB2_879
.LBB2_889:                              ;   in Loop: Header=BB2_505 Depth=2
	s_or_b64 exec, exec, s[72:73]
	v_cmp_lt_u32_e64 s[18:19], 6, v32
	s_and_saveexec_b64 s[72:73], s[18:19]
	s_cbranch_execz .LBB2_880
.LBB2_890:                              ;   in Loop: Header=BB2_505 Depth=2
	flat_store_byte_d16_hi v[46:47], v18 offset:6
	s_or_b64 exec, exec, s[72:73]
	s_and_saveexec_b64 s[18:19], vcc
	s_cbranch_execnz .LBB2_881
	s_branch .LBB2_882
.LBB2_891:                              ;   in Loop: Header=BB2_21 Depth=1
	s_or_b64 exec, exec, s[62:63]
	buffer_load_dword v48, off, s[0:3], s32 offset:152 ; 4-byte Folded Reload
	buffer_load_dword v49, off, s[0:3], s32 offset:156 ; 4-byte Folded Reload
.LBB2_892:                              ;   in Loop: Header=BB2_21 Depth=1
	s_or_b64 exec, exec, s[20:21]
	buffer_load_dword v17, off, s[0:3], s32 offset:136 ; 4-byte Folded Reload
	buffer_load_dword v18, off, s[0:3], s32 offset:140 ; 4-byte Folded Reload
	;; [unrolled: 1-line block ×6, first 2 shown]
	s_waitcnt vmcnt(0)
	v_mov_b32_e32 v28, v20
	v_mov_b32_e32 v27, v19
	s_and_saveexec_b64 s[18:19], s[10:11]
	s_cbranch_execz .LBB2_911
; %bb.893:                              ;   in Loop: Header=BB2_21 Depth=1
	s_and_saveexec_b64 s[20:21], s[42:43]
	s_xor_b64 s[20:21], exec, s[20:21]
	s_cbranch_execz .LBB2_908
; %bb.894:                              ;   in Loop: Header=BB2_21 Depth=1
	s_and_saveexec_b64 s[62:63], s[12:13]
	s_cbranch_execz .LBB2_907
; %bb.895:                              ;   in Loop: Header=BB2_21 Depth=1
	s_mov_b64 s[74:75], exec
	s_waitcnt lgkmcnt(0)
	v_mbcnt_lo_u32_b32 v0, s74, 0
	v_mbcnt_hi_u32_b32 v0, s75, v0
	v_cmp_eq_u32_e32 vcc, 0, v0
	buffer_wbinvl1_vol
	s_and_saveexec_b64 s[72:73], vcc
	s_cbranch_execz .LBB2_897
; %bb.896:                              ;   in Loop: Header=BB2_21 Depth=1
	s_bcnt1_i32_b64 s28, s[74:75]
	v_mov_b32_e32 v40, s28
	ds_add_u64 v0, v[40:41]
	s_trap 2
.LBB2_897:                              ;   in Loop: Header=BB2_21 Depth=1
	s_or_b64 exec, exec, s[72:73]
	s_trap 2
	ds_read_b64 v[9:10], v0
	s_waitcnt lgkmcnt(0)
	buffer_load_dword v0, off, s[0:3], s32 offset:96 ; 4-byte Folded Reload
	s_waitcnt vmcnt(0)
	v_add_co_u32_e32 v2, vcc, v2, v0
	v_addc_co_u32_e32 v3, vcc, 0, v3, vcc
	v_cmp_lt_u64_e32 vcc, v[9:10], v[2:3]
	s_and_saveexec_b64 s[72:73], vcc
	s_cbranch_execz .LBB2_906
; %bb.898:                              ;   in Loop: Header=BB2_21 Depth=1
	s_mov_b32 s28, 0
	s_mov_b64 s[74:75], 0
                                        ; implicit-def: $sgpr76_sgpr77
                                        ; implicit-def: $sgpr78_sgpr79
	s_branch .LBB2_900
.LBB2_899:                              ;   in Loop: Header=BB2_900 Depth=2
	s_or_b64 exec, exec, s[90:91]
	s_and_b64 s[88:89], exec, s[92:93]
	s_or_b64 s[74:75], s[88:89], s[74:75]
	s_andn2_b64 s[76:77], s[76:77], exec
	s_and_b64 s[88:89], s[78:79], exec
	s_or_b64 s[76:77], s[76:77], s[88:89]
	s_andn2_b64 exec, exec, s[74:75]
	s_cbranch_execz .LBB2_904
.LBB2_900:                              ;   Parent Loop BB2_21 Depth=1
                                        ; =>  This Inner Loop Header: Depth=2
	s_add_i32 s28, s28, 1
	s_cmpk_lg_i32 s28, 0x2710
	s_cselect_b64 s[88:89], -1, 0
	s_and_b64 vcc, exec, s[88:89]
	s_cbranch_vccz .LBB2_902
; %bb.901:                              ;   in Loop: Header=BB2_900 Depth=2
	s_mov_b64 s[92:93], -1
	s_or_b64 s[78:79], s[78:79], exec
	s_and_saveexec_b64 s[90:91], s[88:89]
	s_cbranch_execz .LBB2_899
	s_branch .LBB2_903
.LBB2_902:                              ;   in Loop: Header=BB2_900 Depth=2
	s_trap 2
	ds_read_b64 v[9:10], v0
	s_andn2_b64 s[88:89], s[88:89], exec
	s_mov_b32 s28, 0
	s_waitcnt lgkmcnt(0)
	flat_load_dword v0, v[9:10] glc
	s_waitcnt vmcnt(0) lgkmcnt(0)
	buffer_wbinvl1_vol
	v_cmp_eq_u32_e32 vcc, 0, v0
	s_and_b64 s[90:91], vcc, exec
	s_or_b64 s[88:89], s[88:89], s[90:91]
	s_mov_b64 s[92:93], -1
	s_or_b64 s[78:79], s[78:79], exec
	s_and_saveexec_b64 s[90:91], s[88:89]
	s_cbranch_execz .LBB2_899
.LBB2_903:                              ;   in Loop: Header=BB2_900 Depth=2
	s_sleep 1
	s_trap 2
	ds_read_b64 v[9:10], v0
	s_waitcnt lgkmcnt(0)
	s_andn2_b64 s[78:79], s[78:79], exec
	v_cmp_ge_u64_e32 vcc, v[9:10], v[2:3]
	s_orn2_b64 s[92:93], vcc, exec
	s_branch .LBB2_899
.LBB2_904:                              ;   in Loop: Header=BB2_21 Depth=1
	s_or_b64 exec, exec, s[74:75]
	s_and_saveexec_b64 s[74:75], s[76:77]
	s_xor_b64 s[74:75], exec, s[74:75]
	s_cbranch_execz .LBB2_906
; %bb.905:                              ;   in Loop: Header=BB2_21 Depth=1
	v_mov_b32_e32 v0, 1
	ds_write_b32 v0, v0
	s_trap 2
.LBB2_906:                              ;   in Loop: Header=BB2_21 Depth=1
	s_or_b64 exec, exec, s[72:73]
	;;#ASMSTART
	s_wakeup
	;;#ASMEND
.LBB2_907:                              ;   in Loop: Header=BB2_21 Depth=1
	s_or_b64 exec, exec, s[62:63]
.LBB2_908:                              ;   in Loop: Header=BB2_21 Depth=1
	s_andn2_saveexec_b64 s[20:21], s[20:21]
	s_cbranch_execz .LBB2_910
; %bb.909:                              ;   in Loop: Header=BB2_21 Depth=1
	s_waitcnt lgkmcnt(0)
	buffer_wbinvl1_vol
	s_barrier
.LBB2_910:                              ;   in Loop: Header=BB2_21 Depth=1
	s_or_b64 exec, exec, s[20:21]
.LBB2_911:                              ;   in Loop: Header=BB2_21 Depth=1
	s_or_b64 exec, exec, s[18:19]
	s_and_saveexec_b64 s[18:19], s[16:17]
	s_cbranch_execz .LBB2_20
; %bb.912:                              ;   in Loop: Header=BB2_21 Depth=1
	buffer_load_dword v9, off, s[0:3], s32 offset:68 ; 4-byte Folded Reload
	buffer_load_dword v10, off, s[0:3], s32 offset:72 ; 4-byte Folded Reload
	v_add_co_u32_e32 v38, vcc, 1, v38
	v_addc_co_u32_e32 v39, vcc, 0, v39, vcc
	s_waitcnt vmcnt(0)
	flat_store_dwordx2 v[9:10], v[38:39]
	s_branch .LBB2_20
.LBB2_913:
	s_or_b64 exec, exec, s[40:41]
	buffer_load_dword v31, off, s[0:3], s32 offset:208 ; 4-byte Folded Reload
	buffer_load_dword v11, off, s[0:3], s32 offset:212 ; 4-byte Folded Reload
	;; [unrolled: 1-line block ×6, first 2 shown]
.LBB2_914:
	s_or_b64 exec, exec, s[26:27]
	s_and_saveexec_b64 s[6:7], s[24:25]
	s_cbranch_execz .LBB2_917
; %bb.915:
	s_waitcnt vmcnt(0) lgkmcnt(0)
	flat_store_dwordx2 v[32:33], v[38:39] offset:104
	s_or_b64 exec, exec, s[6:7]
	s_and_saveexec_b64 s[6:7], s[4:5]
	s_cbranch_execnz .LBB2_918
.LBB2_916:
	s_or_b64 exec, exec, s[6:7]
	v_cmp_ne_u32_e32 vcc, 64, v1
	s_and_saveexec_b64 s[4:5], vcc
	s_cbranch_execnz .LBB2_919
	s_branch .LBB2_936
.LBB2_917:
	s_or_b64 exec, exec, s[6:7]
	s_and_saveexec_b64 s[6:7], s[4:5]
	s_cbranch_execz .LBB2_916
.LBB2_918:
	s_waitcnt vmcnt(0) lgkmcnt(0)
	flat_store_dwordx2 v[9:10], v[15:16] offset:104
	s_or_b64 exec, exec, s[6:7]
	v_cmp_ne_u32_e32 vcc, 64, v1
	s_and_saveexec_b64 s[4:5], vcc
	s_cbranch_execz .LBB2_936
.LBB2_919:
	s_waitcnt vmcnt(0)
	v_cmp_ne_u32_sdwa s[6:7], v1, v11 src0_sel:DWORD src1_sel:WORD_0
	s_and_saveexec_b64 s[8:9], s[6:7]
	s_xor_b64 s[6:7], exec, s[8:9]
	s_cbranch_execz .LBB2_934
; %bb.920:
	s_waitcnt lgkmcnt(0)
	v_and_b32_e32 v0, 63, v31
	v_cmp_eq_u32_e32 vcc, 0, v0
	s_and_saveexec_b64 s[8:9], vcc
	s_cbranch_execz .LBB2_933
; %bb.921:
	s_mov_b64 s[12:13], exec
	v_mbcnt_lo_u32_b32 v0, s12, 0
	v_mbcnt_hi_u32_b32 v0, s13, v0
	v_cmp_eq_u32_e32 vcc, 0, v0
	buffer_wbinvl1_vol
	s_and_saveexec_b64 s[10:11], vcc
	s_cbranch_execz .LBB2_923
; %bb.922:
	s_bcnt1_i32_b64 s12, s[12:13]
	v_mov_b32_e32 v4, s12
	v_mov_b32_e32 v5, 0
	ds_add_u64 v0, v[4:5]
	s_trap 2
.LBB2_923:
	s_or_b64 exec, exec, s[10:11]
	v_lshrrev_b32_e32 v0, 6, v1
	s_trap 2
	ds_read_b64 v[4:5], v0
	s_waitcnt lgkmcnt(0)
	v_add_co_u32_e32 v0, vcc, v2, v0
	v_addc_co_u32_e32 v1, vcc, 0, v3, vcc
	v_cmp_lt_u64_e32 vcc, v[4:5], v[0:1]
	s_and_saveexec_b64 s[10:11], vcc
	s_cbranch_execz .LBB2_932
; %bb.924:
	s_mov_b32 s24, 0
	s_mov_b64 s[12:13], 0
                                        ; implicit-def: $sgpr14_sgpr15
                                        ; implicit-def: $sgpr16_sgpr17
	s_branch .LBB2_926
.LBB2_925:                              ;   in Loop: Header=BB2_926 Depth=1
	s_or_b64 exec, exec, s[20:21]
	s_and_b64 s[18:19], exec, s[22:23]
	s_or_b64 s[12:13], s[18:19], s[12:13]
	s_andn2_b64 s[14:15], s[14:15], exec
	s_and_b64 s[18:19], s[16:17], exec
	s_or_b64 s[14:15], s[14:15], s[18:19]
	s_andn2_b64 exec, exec, s[12:13]
	s_cbranch_execz .LBB2_930
.LBB2_926:                              ; =>This Inner Loop Header: Depth=1
	s_add_i32 s24, s24, 1
	s_cmpk_lg_i32 s24, 0x2710
	s_cselect_b64 s[18:19], -1, 0
	s_and_b64 vcc, exec, s[18:19]
	s_cbranch_vccz .LBB2_928
; %bb.927:                              ;   in Loop: Header=BB2_926 Depth=1
	s_mov_b64 s[22:23], -1
	s_or_b64 s[16:17], s[16:17], exec
	s_and_saveexec_b64 s[20:21], s[18:19]
	s_cbranch_execz .LBB2_925
	s_branch .LBB2_929
.LBB2_928:                              ;   in Loop: Header=BB2_926 Depth=1
	s_trap 2
	ds_read_b64 v[2:3], v0
	s_andn2_b64 s[18:19], s[18:19], exec
	s_mov_b32 s24, 0
	s_waitcnt lgkmcnt(0)
	flat_load_dword v2, v[2:3] glc
	s_waitcnt vmcnt(0) lgkmcnt(0)
	buffer_wbinvl1_vol
	v_cmp_eq_u32_e32 vcc, 0, v2
	s_and_b64 s[20:21], vcc, exec
	s_or_b64 s[18:19], s[18:19], s[20:21]
	s_mov_b64 s[22:23], -1
	s_or_b64 s[16:17], s[16:17], exec
	s_and_saveexec_b64 s[20:21], s[18:19]
	s_cbranch_execz .LBB2_925
.LBB2_929:                              ;   in Loop: Header=BB2_926 Depth=1
	s_sleep 1
	s_trap 2
	ds_read_b64 v[2:3], v0
	s_waitcnt lgkmcnt(0)
	s_andn2_b64 s[16:17], s[16:17], exec
	v_cmp_ge_u64_e32 vcc, v[2:3], v[0:1]
	s_orn2_b64 s[22:23], vcc, exec
	s_branch .LBB2_925
.LBB2_930:
	s_or_b64 exec, exec, s[12:13]
	s_and_saveexec_b64 s[12:13], s[14:15]
	s_xor_b64 s[12:13], exec, s[12:13]
	s_cbranch_execz .LBB2_932
; %bb.931:
	v_mov_b32_e32 v0, 1
	ds_write_b32 v0, v0
	s_trap 2
.LBB2_932:
	s_or_b64 exec, exec, s[10:11]
	;;#ASMSTART
	s_wakeup
	;;#ASMEND
.LBB2_933:
	s_or_b64 exec, exec, s[8:9]
.LBB2_934:
	s_andn2_saveexec_b64 s[6:7], s[6:7]
	s_cbranch_execz .LBB2_936
; %bb.935:
	s_waitcnt lgkmcnt(0)
	buffer_wbinvl1_vol
	s_barrier
.LBB2_936:
	s_or_b64 exec, exec, s[4:5]
	buffer_load_dword v62, off, s[0:3], s32 ; 4-byte Folded Reload
	buffer_load_dword v61, off, s[0:3], s32 offset:4 ; 4-byte Folded Reload
	buffer_load_dword v60, off, s[0:3], s32 offset:8 ; 4-byte Folded Reload
	;; [unrolled: 1-line block ×14, first 2 shown]
	v_readlane_b32 s30, v63, 9
	v_readlane_b32 s31, v63, 10
	;; [unrolled: 1-line block ×11, first 2 shown]
	s_or_saveexec_b64 s[4:5], -1
	buffer_load_dword v63, off, s[0:3], s32 offset:232 ; 4-byte Folded Reload
	s_mov_b64 exec, s[4:5]
	s_waitcnt vmcnt(0) lgkmcnt(0)
	s_setpc_b64 s[30:31]
.Lfunc_end2:
	.size	_ZN12_GLOBAL__N_17runRingI14__hip_fp8_e4m310FuncMinMaxIS1_E7ProtoLLLi0ELi2ELi0EEEviiP15ncclDevWorkColl, .Lfunc_end2-_ZN12_GLOBAL__N_17runRingI14__hip_fp8_e4m310FuncMinMaxIS1_E7ProtoLLLi0ELi2ELi0EEEviiP15ncclDevWorkColl
                                        ; -- End function
	.set .L_ZN12_GLOBAL__N_17runRingI14__hip_fp8_e4m310FuncMinMaxIS1_E7ProtoLLLi0ELi2ELi0EEEviiP15ncclDevWorkColl.num_vgpr, 64
	.set .L_ZN12_GLOBAL__N_17runRingI14__hip_fp8_e4m310FuncMinMaxIS1_E7ProtoLLLi0ELi2ELi0EEEviiP15ncclDevWorkColl.num_agpr, 0
	.set .L_ZN12_GLOBAL__N_17runRingI14__hip_fp8_e4m310FuncMinMaxIS1_E7ProtoLLLi0ELi2ELi0EEEviiP15ncclDevWorkColl.numbered_sgpr, 96
	.set .L_ZN12_GLOBAL__N_17runRingI14__hip_fp8_e4m310FuncMinMaxIS1_E7ProtoLLLi0ELi2ELi0EEEviiP15ncclDevWorkColl.num_named_barrier, 0
	.set .L_ZN12_GLOBAL__N_17runRingI14__hip_fp8_e4m310FuncMinMaxIS1_E7ProtoLLLi0ELi2ELi0EEEviiP15ncclDevWorkColl.private_seg_size, 240
	.set .L_ZN12_GLOBAL__N_17runRingI14__hip_fp8_e4m310FuncMinMaxIS1_E7ProtoLLLi0ELi2ELi0EEEviiP15ncclDevWorkColl.uses_vcc, 1
	.set .L_ZN12_GLOBAL__N_17runRingI14__hip_fp8_e4m310FuncMinMaxIS1_E7ProtoLLLi0ELi2ELi0EEEviiP15ncclDevWorkColl.uses_flat_scratch, 0
	.set .L_ZN12_GLOBAL__N_17runRingI14__hip_fp8_e4m310FuncMinMaxIS1_E7ProtoLLLi0ELi2ELi0EEEviiP15ncclDevWorkColl.has_dyn_sized_stack, 0
	.set .L_ZN12_GLOBAL__N_17runRingI14__hip_fp8_e4m310FuncMinMaxIS1_E7ProtoLLLi0ELi2ELi0EEEviiP15ncclDevWorkColl.has_recursion, 0
	.set .L_ZN12_GLOBAL__N_17runRingI14__hip_fp8_e4m310FuncMinMaxIS1_E7ProtoLLLi0ELi2ELi0EEEviiP15ncclDevWorkColl.has_indirect_call, 0
	.section	.AMDGPU.csdata,"",@progbits
; Function info:
; codeLenInByte = 26840
; TotalNumSgprs: 100
; NumVgprs: 64
; ScratchSize: 240
; MemoryBound: 0
	.text
	.p2align	2                               ; -- Begin function _Z53ncclDevFunc_ReduceScatter_RING_LL_MinMax_f8e4m3_0_0_2v
	.type	_Z53ncclDevFunc_ReduceScatter_RING_LL_MinMax_f8e4m3_0_0_2v,@function
_Z53ncclDevFunc_ReduceScatter_RING_LL_MinMax_f8e4m3_0_0_2v: ; @_Z53ncclDevFunc_ReduceScatter_RING_LL_MinMax_f8e4m3_0_0_2v
; %bb.0:
	s_waitcnt vmcnt(0) expcnt(0) lgkmcnt(0)
	s_mov_b32 s4, s33
	s_mov_b32 s33, s32
	s_or_saveexec_b64 s[6:7], -1
	buffer_store_dword v43, off, s[0:3], s33 offset:16 ; 4-byte Folded Spill
	s_mov_b64 exec, s[6:7]
	v_writelane_b32 v43, s4, 17
	s_addk_i32 s32, 0x800
	buffer_store_dword v40, off, s[0:3], s33 offset:12 ; 4-byte Folded Spill
	buffer_store_dword v41, off, s[0:3], s33 offset:8 ; 4-byte Folded Spill
	buffer_store_dword v42, off, s[0:3], s33 offset:4 ; 4-byte Folded Spill
	buffer_store_dword v63, off, s[0:3], s33 ; 4-byte Folded Spill
	v_writelane_b32 v43, s34, 0
	v_writelane_b32 v43, s35, 1
	;; [unrolled: 1-line block ×17, first 2 shown]
	s_trap 2
	ds_read_b32 v0, v0
	v_mov_b32_e32 v40, v31
	v_and_b32_e32 v41, 0x3ff, v40
	s_mov_b32 s51, s12
	s_mov_b64 s[52:53], s[8:9]
	s_waitcnt lgkmcnt(0)
	v_cmp_lt_i32_e32 vcc, v41, v0
	s_and_saveexec_b64 s[4:5], vcc
	s_cbranch_execz .LBB3_5
; %bb.1:
	s_load_dword s6, s[52:53], 0x0
	v_mov_b32_e32 v1, 0
	s_mov_b32 s10, 0
	v_mov_b32_e32 v4, v41
                                        ; implicit-def: $vgpr3
	s_waitcnt lgkmcnt(0)
	s_cmp_lt_u32 s51, s6
	s_cselect_b32 s6, 12, 18
	s_add_u32 s6, s52, s6
	s_addc_u32 s7, s53, 0
	global_load_ushort v1, v1, s[6:7]
	s_trap 2
	ds_read_b32 v2, v0
	s_mov_b64 s[6:7], 0
	s_waitcnt vmcnt(0) lgkmcnt(0)
	v_mul_lo_u32 v2, v2, v1
	s_branch .LBB3_3
.LBB3_2:                                ;   in Loop: Header=BB3_3 Depth=1
	s_or_b64 exec, exec, s[8:9]
	v_add_u32_e32 v4, v4, v1
	v_cmp_ge_i32_e32 vcc, v4, v0
	s_or_b64 s[6:7], vcc, s[6:7]
	v_add_u32_e32 v3, v3, v2
	s_andn2_b64 exec, exec, s[6:7]
	s_cbranch_execz .LBB3_5
.LBB3_3:                                ; =>This Inner Loop Header: Depth=1
	ds_read_b32 v5, v3
	s_waitcnt lgkmcnt(0)
	v_and_b32_e32 v5, 0x1000000, v5
	v_cmp_ne_u32_e32 vcc, 0, v5
	s_and_saveexec_b64 s[8:9], vcc
	s_cbranch_execz .LBB3_2
; %bb.4:                                ;   in Loop: Header=BB3_3 Depth=1
	ds_read_b64 v[5:6], v3 offset:104
	s_waitcnt lgkmcnt(0)
	flat_load_ubyte v5, v[5:6]
	v_mov_b32_e32 v6, s10
	s_waitcnt vmcnt(0) lgkmcnt(0)
	v_and_b32_e32 v5, 0xffff, v5
	ds_write_b64 v3, v[5:6] offset:104
	s_branch .LBB3_2
.LBB3_5:
	s_or_b64 exec, exec, s[4:5]
	s_waitcnt vmcnt(0) lgkmcnt(0)
	s_barrier
	s_trap 2
	ds_read_b32 v0, v0
	s_waitcnt lgkmcnt(0)
	v_cmp_gt_i32_e32 vcc, 1, v0
	s_cbranch_vccnz .LBB3_13
; %bb.6:
	s_mov_b32 s64, 0
	v_mov_b32_e32 v42, 6
	s_branch .LBB3_8
.LBB3_7:                                ;   in Loop: Header=BB3_8 Depth=1
	s_or_b64 exec, exec, s[54:55]
	s_trap 2
	ds_read_b32 v0, v0
	s_add_i32 s64, s64, 1
	s_waitcnt lgkmcnt(0)
	v_cmp_lt_i32_e32 vcc, s64, v0
	s_cbranch_vccz .LBB3_13
.LBB3_8:                                ; =>This Inner Loop Header: Depth=1
	s_trap 2
	ds_read_b32 v0, v0
	s_cmp_eq_u32 s64, 0
	s_cbranch_scc1 .LBB3_11
; %bb.9:                                ;   in Loop: Header=BB3_8 Depth=1
	s_trap 2
	s_waitcnt lgkmcnt(0)
	ds_read_b32 v1, v0
	s_waitcnt lgkmcnt(0)
	v_xor_b32_e32 v1, v1, v0
	v_and_b32_e32 v1, 0xff0000, v1
	v_cmp_eq_u32_e32 vcc, 0, v1
	s_cbranch_vccnz .LBB3_11
; %bb.10:                               ;   in Loop: Header=BB3_8 Depth=1
	s_barrier
	ds_read_b32 v0, v0
.LBB3_11:                               ;   in Loop: Header=BB3_8 Depth=1
	s_waitcnt lgkmcnt(0)
	v_lshlrev_b32_sdwa v1, v42, v0 dst_sel:DWORD dst_unused:UNUSED_PAD src0_sel:DWORD src1_sel:BYTE_2
	v_cmp_lt_u32_e32 vcc, v41, v1
	s_and_saveexec_b64 s[54:55], vcc
	s_cbranch_execz .LBB3_7
; %bb.12:                               ;   in Loop: Header=BB3_8 Depth=1
	s_mov_b64 s[4:5], src_shared_base
	s_getpc_b64 s[6:7]
	s_add_u32 s6, s6, _ZN12_GLOBAL__N_17runRingI14__hip_fp8_e4m310FuncMinMaxIS1_E7ProtoLLLi0ELi2ELi0EEEviiP15ncclDevWorkColl@rel32@lo+4
	s_addc_u32 s7, s7, _ZN12_GLOBAL__N_17runRingI14__hip_fp8_e4m310FuncMinMaxIS1_E7ProtoLLLi0ELi2ELi0EEEviiP15ncclDevWorkColl@rel32@hi+12
	s_mov_b64 s[8:9], s[52:53]
	s_mov_b32 s12, s51
	v_mov_b32_e32 v31, v40
	v_mov_b32_e32 v0, v41
	;; [unrolled: 1-line block ×3, first 2 shown]
	s_swappc_b64 s[30:31], s[6:7]
	s_branch .LBB3_7
.LBB3_13:
	buffer_load_dword v63, off, s[0:3], s33 ; 4-byte Folded Reload
	buffer_load_dword v42, off, s[0:3], s33 offset:4 ; 4-byte Folded Reload
	buffer_load_dword v41, off, s[0:3], s33 offset:8 ; 4-byte Folded Reload
	;; [unrolled: 1-line block ×3, first 2 shown]
	v_readlane_b32 s30, v43, 15
	v_readlane_b32 s31, v43, 16
	v_readlane_b32 s64, v43, 14
	v_readlane_b32 s55, v43, 13
	v_readlane_b32 s54, v43, 12
	v_readlane_b32 s53, v43, 11
	v_readlane_b32 s52, v43, 10
	v_readlane_b32 s51, v43, 9
	v_readlane_b32 s50, v43, 8
	v_readlane_b32 s49, v43, 7
	v_readlane_b32 s48, v43, 6
	v_readlane_b32 s39, v43, 5
	v_readlane_b32 s38, v43, 4
	v_readlane_b32 s37, v43, 3
	v_readlane_b32 s36, v43, 2
	v_readlane_b32 s35, v43, 1
	v_readlane_b32 s34, v43, 0
	s_mov_b32 s32, s33
	v_readlane_b32 s4, v43, 17
	s_or_saveexec_b64 s[6:7], -1
	buffer_load_dword v43, off, s[0:3], s33 offset:16 ; 4-byte Folded Reload
	s_mov_b64 exec, s[6:7]
	s_mov_b32 s33, s4
	s_waitcnt vmcnt(0)
	s_setpc_b64 s[30:31]
.Lfunc_end3:
	.size	_Z53ncclDevFunc_ReduceScatter_RING_LL_MinMax_f8e4m3_0_0_2v, .Lfunc_end3-_Z53ncclDevFunc_ReduceScatter_RING_LL_MinMax_f8e4m3_0_0_2v
                                        ; -- End function
	.set .L_Z53ncclDevFunc_ReduceScatter_RING_LL_MinMax_f8e4m3_0_0_2v.num_vgpr, max(64, .L_ZN12_GLOBAL__N_17runRingI14__hip_fp8_e4m310FuncMinMaxIS1_E7ProtoLLLi0ELi2ELi0EEEviiP15ncclDevWorkColl.num_vgpr)
	.set .L_Z53ncclDevFunc_ReduceScatter_RING_LL_MinMax_f8e4m3_0_0_2v.num_agpr, max(0, .L_ZN12_GLOBAL__N_17runRingI14__hip_fp8_e4m310FuncMinMaxIS1_E7ProtoLLLi0ELi2ELi0EEEviiP15ncclDevWorkColl.num_agpr)
	.set .L_Z53ncclDevFunc_ReduceScatter_RING_LL_MinMax_f8e4m3_0_0_2v.numbered_sgpr, max(65, .L_ZN12_GLOBAL__N_17runRingI14__hip_fp8_e4m310FuncMinMaxIS1_E7ProtoLLLi0ELi2ELi0EEEviiP15ncclDevWorkColl.numbered_sgpr)
	.set .L_Z53ncclDevFunc_ReduceScatter_RING_LL_MinMax_f8e4m3_0_0_2v.num_named_barrier, max(0, .L_ZN12_GLOBAL__N_17runRingI14__hip_fp8_e4m310FuncMinMaxIS1_E7ProtoLLLi0ELi2ELi0EEEviiP15ncclDevWorkColl.num_named_barrier)
	.set .L_Z53ncclDevFunc_ReduceScatter_RING_LL_MinMax_f8e4m3_0_0_2v.private_seg_size, 32+max(.L_ZN12_GLOBAL__N_17runRingI14__hip_fp8_e4m310FuncMinMaxIS1_E7ProtoLLLi0ELi2ELi0EEEviiP15ncclDevWorkColl.private_seg_size)
	.set .L_Z53ncclDevFunc_ReduceScatter_RING_LL_MinMax_f8e4m3_0_0_2v.uses_vcc, or(1, .L_ZN12_GLOBAL__N_17runRingI14__hip_fp8_e4m310FuncMinMaxIS1_E7ProtoLLLi0ELi2ELi0EEEviiP15ncclDevWorkColl.uses_vcc)
	.set .L_Z53ncclDevFunc_ReduceScatter_RING_LL_MinMax_f8e4m3_0_0_2v.uses_flat_scratch, or(0, .L_ZN12_GLOBAL__N_17runRingI14__hip_fp8_e4m310FuncMinMaxIS1_E7ProtoLLLi0ELi2ELi0EEEviiP15ncclDevWorkColl.uses_flat_scratch)
	.set .L_Z53ncclDevFunc_ReduceScatter_RING_LL_MinMax_f8e4m3_0_0_2v.has_dyn_sized_stack, or(0, .L_ZN12_GLOBAL__N_17runRingI14__hip_fp8_e4m310FuncMinMaxIS1_E7ProtoLLLi0ELi2ELi0EEEviiP15ncclDevWorkColl.has_dyn_sized_stack)
	.set .L_Z53ncclDevFunc_ReduceScatter_RING_LL_MinMax_f8e4m3_0_0_2v.has_recursion, or(1, .L_ZN12_GLOBAL__N_17runRingI14__hip_fp8_e4m310FuncMinMaxIS1_E7ProtoLLLi0ELi2ELi0EEEviiP15ncclDevWorkColl.has_recursion)
	.set .L_Z53ncclDevFunc_ReduceScatter_RING_LL_MinMax_f8e4m3_0_0_2v.has_indirect_call, or(0, .L_ZN12_GLOBAL__N_17runRingI14__hip_fp8_e4m310FuncMinMaxIS1_E7ProtoLLLi0ELi2ELi0EEEviiP15ncclDevWorkColl.has_indirect_call)
	.section	.AMDGPU.csdata,"",@progbits
; Function info:
; codeLenInByte = 880
; TotalNumSgprs: 100
; NumVgprs: 64
; ScratchSize: 272
; MemoryBound: 0
	.text
	.p2align	2                               ; -- Begin function _ZN12_GLOBAL__N_17runRingI14__hip_fp8_e4m310FuncMinMaxIS1_E7ProtoLLLi0ELi4ELi0EEEviiP15ncclDevWorkColl
	.type	_ZN12_GLOBAL__N_17runRingI14__hip_fp8_e4m310FuncMinMaxIS1_E7ProtoLLLi0ELi4ELi0EEEviiP15ncclDevWorkColl,@function
_ZN12_GLOBAL__N_17runRingI14__hip_fp8_e4m310FuncMinMaxIS1_E7ProtoLLLi0ELi4ELi0EEEviiP15ncclDevWorkColl: ; @_ZN12_GLOBAL__N_17runRingI14__hip_fp8_e4m310FuncMinMaxIS1_E7ProtoLLLi0ELi4ELi0EEEviiP15ncclDevWorkColl
; %bb.0:
	s_waitcnt vmcnt(0) expcnt(0) lgkmcnt(0)
	s_or_saveexec_b64 s[4:5], -1
	buffer_store_dword v63, off, s[0:3], s32 offset:232 ; 4-byte Folded Spill
	s_mov_b64 exec, s[4:5]
	buffer_store_dword v40, off, s[0:3], s32 offset:56 ; 4-byte Folded Spill
	buffer_store_dword v41, off, s[0:3], s32 offset:52 ; 4-byte Folded Spill
	;; [unrolled: 1-line block ×14, first 2 shown]
	buffer_store_dword v62, off, s[0:3], s32 ; 4-byte Folded Spill
	v_writelane_b32 v63, s34, 0
	v_writelane_b32 v63, s35, 1
	;; [unrolled: 1-line block ×11, first 2 shown]
	s_trap 2
	flat_load_dword v7, v[2:3]
	flat_load_dwordx4 v[25:28], v[2:3] offset:72
	flat_load_dwordx2 v[17:18], v[2:3] offset:88
	v_mov_b32_e32 v4, v0
	ds_read_b32 v5, v0
	s_waitcnt lgkmcnt(0)
	v_readfirstlane_b32 s22, v5
	s_waitcnt vmcnt(0)
	v_not_b32_sdwa v6, v7 dst_sel:DWORD dst_unused:UNUSED_PAD src0_sel:BYTE_0
	v_add_u32_sdwa v0, v7, v6 dst_sel:DWORD dst_unused:UNUSED_PAD src0_sel:BYTE_1 src1_sel:DWORD
	v_ashrrev_i32_e32 v8, 31, v0
	v_mul_lo_u32 v9, v28, v0
	v_mad_u64_u32 v[19:20], s[4:5], v27, v0, 0
	v_mul_lo_u32 v0, v27, v8
	v_cmp_ne_u32_sdwa s[4:5], v5, v7 src0_sel:DWORD src1_sel:BYTE_0
	ds_read_b64 v[23:24], v0
	v_add3_u32 v0, v20, v0, v9
                                        ; implicit-def: $vgpr20_vgpr21
                                        ; implicit-def: $vgpr8_vgpr9
                                        ; kill: killed $vgpr8_vgpr9
	s_and_saveexec_b64 s[6:7], s[4:5]
	s_xor_b64 s[4:5], exec, s[6:7]
	s_cbranch_execz .LBB4_6
; %bb.1:
	v_cmp_ne_u32_sdwa s[6:7], v5, v7 src0_sel:DWORD src1_sel:BYTE_1
                                        ; implicit-def: $vgpr20_vgpr21
                                        ; implicit-def: $vgpr7_vgpr8
                                        ; kill: killed $vgpr7_vgpr8
	s_and_saveexec_b64 s[10:11], s[6:7]
	s_xor_b64 s[6:7], exec, s[10:11]
	s_cbranch_execz .LBB4_3
; %bb.2:
	flat_load_dwordx2 v[7:8], v[2:3] offset:96
	v_add_u32_e32 v5, v5, v6
	v_ashrrev_i32_e32 v6, 31, v5
	v_mul_lo_u32 v6, v27, v6
	v_mul_lo_u32 v9, v28, v5
	v_mad_u64_u32 v[10:11], s[10:11], v27, v5, v[25:26]
	v_add3_u32 v11, v9, v11, v6
	buffer_store_dword v10, off, s[0:3], s32 offset:128 ; 4-byte Folded Spill
	s_nop 0
	buffer_store_dword v11, off, s[0:3], s32 offset:132 ; 4-byte Folded Spill
	s_waitcnt vmcnt(0) lgkmcnt(0)
	v_lshrrev_b64 v[20:21], 17, v[7:8]
.LBB4_3:
	s_andn2_saveexec_b64 s[6:7], s[6:7]
	s_cbranch_execz .LBB4_5
; %bb.4:
	flat_load_dword v5, v[2:3] offset:100
	v_add_co_u32_e32 v6, vcc, v19, v25
	v_mov_b32_e32 v28, v18
	v_addc_co_u32_e32 v7, vcc, v0, v26, vcc
	v_mov_b32_e32 v27, v17
	buffer_store_dword v6, off, s[0:3], s32 offset:128 ; 4-byte Folded Spill
	s_nop 0
	buffer_store_dword v7, off, s[0:3], s32 offset:132 ; 4-byte Folded Spill
	s_waitcnt vmcnt(0) lgkmcnt(0)
	v_lshrrev_b32_e32 v20, 6, v5
.LBB4_5:
	s_or_b64 exec, exec, s[6:7]
.LBB4_6:
	s_andn2_saveexec_b64 s[4:5], s[4:5]
	s_cbranch_execz .LBB4_8
; %bb.7:
	flat_load_dwordx2 v[5:6], v[2:3] offset:96
	v_mov_b32_e32 v28, v26
	v_mov_b32_e32 v27, v25
	s_waitcnt vmcnt(0) lgkmcnt(0)
	v_lshlrev_b64 v[20:21], 4, v[5:6]
	v_mov_b32_e32 v5, 0
	v_mov_b32_e32 v6, 0
	buffer_store_dword v5, off, s[0:3], s32 offset:128 ; 4-byte Folded Spill
	s_nop 0
	buffer_store_dword v6, off, s[0:3], s32 offset:132 ; 4-byte Folded Spill
.LBB4_8:
	s_or_b64 exec, exec, s[4:5]
	flat_load_dwordx2 v[29:30], v[2:3] offset:104
	flat_load_ushort v6, v[2:3] offset:8
	flat_load_dword v5, v[2:3] offset:4
	flat_load_dwordx4 v[7:10], v[2:3] offset:16
	s_load_dword s4, s[8:9], 0x0
	v_mov_b32_e32 v3, 0
	s_mov_b32 s6, 0
	s_waitcnt vmcnt(0) lgkmcnt(0)
	buffer_store_dword v7, off, s[0:3], s32 offset:168 ; 4-byte Folded Spill
	s_nop 0
	buffer_store_dword v8, off, s[0:3], s32 offset:172 ; 4-byte Folded Spill
	buffer_store_dword v9, off, s[0:3], s32 offset:176 ; 4-byte Folded Spill
	;; [unrolled: 1-line block ×3, first 2 shown]
	s_cmp_lt_u32 s12, s4
	s_cselect_b32 s4, 12, 18
	s_add_u32 s4, s8, s4
	s_addc_u32 s5, s9, 0
	global_load_ushort v11, v3, s[4:5]
	s_trap 2
	ds_read_b32 v2, v0
	v_lshrrev_b64 v[5:6], 31, v[5:6]
	v_mov_b32_e32 v9, 0
	v_and_b32_e32 v6, 3, v5
	v_and_b32_e32 v5, 63, v4
	s_waitcnt lgkmcnt(0)
	v_cmp_gt_i32_e32 vcc, 0, v2
	v_readfirstlane_b32 s8, v2
	v_mov_b32_e32 v10, 0
	v_cmp_eq_u32_e64 s[4:5], 0, v5
	s_cbranch_vccnz .LBB4_10
; %bb.9:
	s_trap 2
	ds_read_b64 v[7:8], v0
	v_lshlrev_b64 v[2:3], 3, v[2:3]
	s_movk_i32 s6, 0xa8
	s_waitcnt lgkmcnt(0)
	v_add_co_u32_e32 v2, vcc, v7, v2
	v_addc_co_u32_e32 v3, vcc, v8, v3, vcc
	flat_load_dwordx2 v[2:3], v[2:3]
	v_and_b32_e32 v7, 0xffff, v6
	s_waitcnt vmcnt(0) lgkmcnt(0)
	v_mad_u64_u32 v[2:3], s[6:7], v7, s6, v[2:3]
	s_mov_b32 s6, 1
	flat_load_dwordx2 v[7:8], v[2:3] offset:504
	v_add_co_u32_e32 v32, vcc, 0x1f8, v2
	v_addc_co_u32_e32 v33, vcc, 0, v3, vcc
	s_waitcnt vmcnt(0) lgkmcnt(0)
	buffer_store_dword v7, off, s[0:3], s32 offset:76 ; 4-byte Folded Spill
	s_nop 0
	buffer_store_dword v8, off, s[0:3], s32 offset:80 ; 4-byte Folded Spill
	flat_load_dwordx2 v[34:35], v[2:3] offset:608
	v_cndmask_b32_e64 v3, 0, v33, s[4:5]
	v_cndmask_b32_e64 v2, 0, v32, s[4:5]
	s_branch .LBB4_11
.LBB4_10:
	v_mov_b32_e32 v32, 0
	v_mov_b32_e32 v2, 0
	;; [unrolled: 1-line block ×4, first 2 shown]
                                        ; implicit-def: $vgpr34_vgpr35
                                        ; implicit-def: $vgpr7_vgpr8
                                        ; kill: killed $vgpr7_vgpr8
.LBB4_11:
	s_trap 2
	ds_read_b32 v13, v0
	s_waitcnt lgkmcnt(0)
	v_cmp_gt_i32_e32 vcc, 0, v13
	s_cbranch_vccnz .LBB4_13
; %bb.12:
	s_trap 2
	ds_read_b64 v[7:8], v0
	v_mov_b32_e32 v14, 0
	v_lshlrev_b64 v[9:10], 3, v[13:14]
	v_and_b32_e32 v6, 0xffff, v6
	s_movk_i32 s4, 0xa8
	s_waitcnt lgkmcnt(0)
	v_add_co_u32_e32 v7, vcc, v7, v9
	v_addc_co_u32_e32 v8, vcc, v8, v10, vcc
	flat_load_dwordx2 v[7:8], v[7:8]
	v_cmp_eq_u32_e32 vcc, 0, v5
	s_waitcnt vmcnt(0) lgkmcnt(0)
	v_mad_u64_u32 v[9:10], s[4:5], v6, s4, v[7:8]
	flat_load_dwordx2 v[36:37], v[9:10]
	flat_load_dwordx2 v[21:22], v[9:10] offset:104
	v_cndmask_b32_e32 v16, 0, v10, vcc
	v_cndmask_b32_e32 v15, 0, v9, vcc
	s_branch .LBB4_14
.LBB4_13:
	v_mov_b32_e32 v15, 0
	v_mov_b32_e32 v16, 0
                                        ; implicit-def: $vgpr21_vgpr22
                                        ; implicit-def: $vgpr36_vgpr37
.LBB4_14:
	v_subrev_u32_e32 v6, 64, v1
	v_cmp_ge_i32_e32 vcc, v4, v6
	v_cmp_gt_u32_e64 s[4:5], s6, v5
	v_mov_b32_e32 v13, 0
	v_mov_b32_e32 v5, 0
	;; [unrolled: 1-line block ×4, first 2 shown]
	s_and_b64 s[24:25], vcc, s[4:5]
	buffer_store_dword v5, off, s[0:3], s32 offset:68 ; 4-byte Folded Spill
	s_nop 0
	buffer_store_dword v6, off, s[0:3], s32 offset:72 ; 4-byte Folded Spill
                                        ; implicit-def: $vgpr38_vgpr39
	s_and_saveexec_b64 s[4:5], s[24:25]
	s_cbranch_execz .LBB4_16
; %bb.15:
	flat_load_dwordx2 v[5:6], v[2:3] offset:56
	s_waitcnt vmcnt(0) lgkmcnt(0)
	buffer_store_dword v5, off, s[0:3], s32 offset:68 ; 4-byte Folded Spill
	s_nop 0
	buffer_store_dword v6, off, s[0:3], s32 offset:72 ; 4-byte Folded Spill
	flat_load_dwordx2 v[38:39], v[2:3] offset:104
.LBB4_16:
	s_or_b64 exec, exec, s[4:5]
	v_mov_b32_e32 v50, 0
	v_mov_b32_e32 v51, 0
	v_cmp_gt_u32_e64 s[4:5], s6, v4
                                        ; implicit-def: $vgpr52_vgpr53
	s_and_saveexec_b64 s[6:7], s[4:5]
	s_cbranch_execz .LBB4_18
; %bb.17:
	flat_load_dwordx2 v[50:51], v[15:16] offset:56
	s_waitcnt vmcnt(0) lgkmcnt(0)
	flat_load_dwordx2 v[52:53], v[50:51] glc
	s_waitcnt vmcnt(0)
	flat_load_dwordx4 v[13:16], v[15:16] offset:96
.LBB4_18:
	s_or_b64 exec, exec, s[6:7]
	v_mov_b32_e32 v2, 0
	v_cmp_ne_u64_e32 vcc, 0, v[27:28]
	v_mov_b32_e32 v3, 0
	s_and_saveexec_b64 s[26:27], vcc
	s_cbranch_execz .LBB4_914
; %bb.19:
	v_add_co_u32_e32 v2, vcc, v17, v25
	s_ashr_i32 s6, s8, 31
	v_addc_co_u32_e32 v3, vcc, v18, v26, vcc
	s_lshr_b32 s6, s6, 29
	v_add_co_u32_e32 v2, vcc, v2, v19
	s_ashr_i32 s23, s22, 31
	s_add_i32 s8, s8, s6
	v_addc_co_u32_e32 v0, vcc, v3, v0, vcc
	s_lshl_b64 s[6:7], s[22:23], 2
	buffer_store_dword v32, off, s[0:3], s32 offset:224 ; 4-byte Folded Spill
	s_nop 0
	buffer_store_dword v33, off, s[0:3], s32 offset:228 ; 4-byte Folded Spill
	buffer_store_dword v9, off, s[0:3], s32 offset:216 ; 4-byte Folded Spill
	s_nop 0
	buffer_store_dword v10, off, s[0:3], s32 offset:220 ; 4-byte Folded Spill
	buffer_store_dword v2, off, s[0:3], s32 offset:64 ; 4-byte Folded Spill
	;; [unrolled: 1-line block ×3, first 2 shown]
	v_mov_b32_e32 v0, s7
	v_add_co_u32_e32 v2, vcc, s6, v23
	v_addc_co_u32_e32 v0, vcc, v24, v0, vcc
	v_add_co_u32_e32 v2, vcc, -4, v2
	v_addc_co_u32_e32 v3, vcc, -1, v0, vcc
	v_and_b32_e32 v0, 63, v31
	v_cmp_eq_u32_e64 s[12:13], 0, v0
	v_lshrrev_b32_e32 v0, 6, v1
	buffer_store_dword v2, off, s[0:3], s32 offset:160 ; 4-byte Folded Spill
	s_nop 0
	buffer_store_dword v3, off, s[0:3], s32 offset:164 ; 4-byte Folded Spill
	s_waitcnt vmcnt(0)
	buffer_store_dword v11, off, s[0:3], s32 offset:212 ; 4-byte Folded Spill
	buffer_store_dword v31, off, s[0:3], s32 offset:208 ; 4-byte Folded Spill
	;; [unrolled: 1-line block ×3, first 2 shown]
	buffer_load_dword v5, off, s[0:3], s32 offset:168 ; 4-byte Folded Reload
	buffer_load_dword v6, off, s[0:3], s32 offset:172 ; 4-byte Folded Reload
	;; [unrolled: 1-line block ×4, first 2 shown]
	v_lshlrev_b32_e32 v9, 3, v4
	v_mov_b32_e32 v41, 0
	s_ashr_i32 s10, s8, 3
	s_ashr_i32 s36, s8, 7
	s_and_b32 s23, s10, -16
	v_cmp_ne_u64_e64 s[6:7], 0, v[50:51]
	s_waitcnt lgkmcnt(0)
	v_cmp_ne_u64_e64 s[8:9], 0, v[13:14]
	s_cmp_gt_i32 s22, 2
	v_mov_b32_e32 v42, 0
	v_and_b32_e32 v48, 0x1fffff0, v20
	s_mov_b32 s29, 0
	v_mov_b32_e32 v49, v41
	s_mov_b64 s[40:41], 0
	v_cmp_ne_u32_e64 s[10:11], 64, v1
	v_cmp_ne_u32_sdwa s[42:43], v1, v11 src0_sel:DWORD src1_sel:WORD_0
	v_lshlrev_b32_e32 v12, 3, v1
	s_cselect_b64 s[44:45], -1, 0
	v_lshlrev_b32_e32 v62, 6, v1
	v_mov_b32_e32 v43, 0
	s_mov_b64 s[46:47], 0x7ffffff8
	s_movk_i32 s37, 0xff
	s_movk_i32 s38, 0x80
	;; [unrolled: 1-line block ×3, first 2 shown]
	s_mov_b64 s[56:57], 0x7f800000
	s_mov_b64 s[58:59], 0x43e00001
	s_movk_i32 s48, 0x7a
	s_mov_b64 s[60:61], 0xffffff
	s_mov_b32 s49, 0xffffff
	v_bfrev_b32_e32 v26, 60
	v_mov_b32_e32 v54, 24
	v_mov_b32_e32 v55, 0
	s_waitcnt vmcnt(1)
	v_add_co_u32_e32 v0, vcc, v7, v9
	buffer_store_dword v0, off, s[0:3], s32 offset:184 ; 4-byte Folded Spill
	s_waitcnt vmcnt(1)
	v_addc_co_u32_e32 v0, vcc, 0, v8, vcc
	buffer_store_dword v0, off, s[0:3], s32 offset:188 ; 4-byte Folded Spill
	buffer_load_dword v2, off, s[0:3], s32 offset:68 ; 4-byte Folded Reload
	buffer_load_dword v3, off, s[0:3], s32 offset:72 ; 4-byte Folded Reload
	v_and_b32_e32 v0, 1, v29
	v_cmp_eq_u32_e64 s[14:15], 1, v0
	v_add_co_u32_e32 v0, vcc, v5, v9
	buffer_store_dword v0, off, s[0:3], s32 offset:192 ; 4-byte Folded Spill
	v_addc_co_u32_e32 v0, vcc, 0, v6, vcc
	buffer_store_dword v0, off, s[0:3], s32 offset:196 ; 4-byte Folded Spill
	s_waitcnt vmcnt(2)
	v_cmp_ne_u64_e64 s[16:17], 0, v[2:3]
	buffer_load_dword v2, off, s[0:3], s32 offset:128 ; 4-byte Folded Reload
	buffer_load_dword v3, off, s[0:3], s32 offset:132 ; 4-byte Folded Reload
	s_waitcnt vmcnt(1)
	v_add_co_u32_e32 v0, vcc, v2, v7
	s_waitcnt vmcnt(0)
	v_addc_co_u32_e32 v2, vcc, v3, v8, vcc
	v_add_co_u32_e32 v5, vcc, v0, v9
	v_addc_co_u32_e32 v6, vcc, 0, v2, vcc
	buffer_store_dword v9, off, s[0:3], s32 offset:124 ; 4-byte Folded Spill
	buffer_store_dword v5, off, s[0:3], s32 offset:100 ; 4-byte Folded Spill
	s_nop 0
	buffer_store_dword v6, off, s[0:3], s32 offset:104 ; 4-byte Folded Spill
	v_mov_b32_e32 v5, v41
	v_lshlrev_b64 v[2:3], 4, v[4:5]
	v_mov_b32_e32 v9, v27
	v_add_co_u32_e32 v0, vcc, v36, v2
	v_mov_b32_e32 v2, v41
	buffer_store_dword v0, off, s[0:3], s32 offset:200 ; 4-byte Folded Spill
	v_addc_co_u32_e32 v0, vcc, v37, v3, vcc
	v_lshlrev_b64 v[5:6], 4, v[1:2]
	v_mov_b32_e32 v2, 0
	v_mov_b32_e32 v3, 0
	;; [unrolled: 1-line block ×5, first 2 shown]
	buffer_store_dword v0, off, s[0:3], s32 offset:204 ; 4-byte Folded Spill
	buffer_store_dword v7, off, s[0:3], s32 offset:136 ; 4-byte Folded Spill
	s_nop 0
	buffer_store_dword v8, off, s[0:3], s32 offset:140 ; 4-byte Folded Spill
	buffer_store_dword v9, off, s[0:3], s32 offset:144 ; 4-byte Folded Spill
	;; [unrolled: 1-line block ×4, first 2 shown]
	s_nop 0
	buffer_store_dword v49, off, s[0:3], s32 offset:156 ; 4-byte Folded Spill
	s_branch .LBB4_21
.LBB4_20:                               ;   in Loop: Header=BB4_21 Depth=1
	s_or_b64 exec, exec, s[18:19]
	buffer_load_dword v9, off, s[0:3], s32 offset:100 ; 4-byte Folded Reload
	buffer_load_dword v10, off, s[0:3], s32 offset:104 ; 4-byte Folded Reload
	v_add_co_u32_e32 v34, vcc, 1, v34
	v_addc_co_u32_e32 v35, vcc, 0, v35, vcc
	v_add_co_u32_e32 v42, vcc, v42, v48
	v_addc_co_u32_e32 v43, vcc, 0, v43, vcc
	s_waitcnt vmcnt(0)
	v_add_co_u32_e32 v9, vcc, v9, v48
	v_addc_co_u32_e32 v10, vcc, 0, v10, vcc
	v_cmp_ge_u64_e32 vcc, v[42:43], v[27:28]
	buffer_store_dword v9, off, s[0:3], s32 offset:100 ; 4-byte Folded Spill
	s_nop 0
	buffer_store_dword v10, off, s[0:3], s32 offset:104 ; 4-byte Folded Spill
	s_or_b64 s[40:41], vcc, s[40:41]
	s_andn2_b64 exec, exec, s[40:41]
	s_cbranch_execz .LBB4_913
.LBB4_21:                               ; =>This Loop Header: Depth=1
                                        ;     Child Loop BB4_26 Depth 2
                                        ;     Child Loop BB4_45 Depth 2
	;; [unrolled: 1-line block ×5, first 2 shown]
                                        ;       Child Loop BB4_75 Depth 3
                                        ;       Child Loop BB4_94 Depth 3
	;; [unrolled: 1-line block ×3, first 2 shown]
                                        ;         Child Loop BB4_116 Depth 4
                                        ;       Child Loop BB4_484 Depth 3
                                        ;       Child Loop BB4_493 Depth 3
                                        ;     Child Loop BB4_505 Depth 2
                                        ;       Child Loop BB4_513 Depth 3
                                        ;     Child Loop BB4_900 Depth 2
	buffer_load_dword v9, off, s[0:3], s32 offset:160 ; 4-byte Folded Reload
	buffer_load_dword v10, off, s[0:3], s32 offset:164 ; 4-byte Folded Reload
	s_waitcnt vmcnt(0) lgkmcnt(0)
	flat_load_dword v0, v[9:10]
	v_sub_co_u32_e32 v9, vcc, v27, v42
	v_subb_co_u32_e32 v10, vcc, v28, v43, vcc
	v_cmp_lt_u64_e32 vcc, v[48:49], v[9:10]
	v_cndmask_b32_e32 v9, v9, v48, vcc
	v_lshl_add_u32 v10, v9, 1, 14
	v_and_b32_e32 v10, 0x7fffff0, v10
	buffer_store_dword v10, off, s[0:3], s32 offset:92 ; 4-byte Folded Spill
	s_and_saveexec_b64 s[20:21], s[6:7]
	s_cbranch_execz .LBB4_37
; %bb.22:                               ;   in Loop: Header=BB4_21 Depth=1
	v_add_co_u32_e32 v17, vcc, 1, v15
	v_addc_co_u32_e32 v18, vcc, 0, v16, vcc
	v_add_co_u32_e32 v10, vcc, 8, v52
	v_addc_co_u32_e32 v11, vcc, 0, v53, vcc
	v_cmp_lt_u64_e32 vcc, v[10:11], v[17:18]
	s_and_saveexec_b64 s[62:63], vcc
	s_cbranch_execz .LBB4_34
; %bb.23:                               ;   in Loop: Header=BB4_21 Depth=1
	s_mov_b32 s28, 0
	v_cmp_eq_u32_e32 vcc, 0, v55
	s_mov_b64 s[72:73], 0
                                        ; implicit-def: $sgpr74_sgpr75
                                        ; implicit-def: $sgpr76_sgpr77
                                        ; implicit-def: $sgpr78_sgpr79
	s_branch .LBB4_26
.LBB4_24:                               ;   in Loop: Header=BB4_26 Depth=2
	s_or_b64 exec, exec, s[30:31]
	s_andn2_b64 s[18:19], s[78:79], exec
	s_and_b64 s[78:79], s[92:93], exec
	s_or_b64 s[78:79], s[18:19], s[78:79]
	s_andn2_b64 s[18:19], s[76:77], exec
	s_and_b64 s[76:77], s[90:91], exec
	s_or_b64 s[76:77], s[18:19], s[76:77]
.LBB4_25:                               ;   in Loop: Header=BB4_26 Depth=2
	s_or_b64 exec, exec, s[88:89]
	s_and_b64 s[18:19], exec, s[76:77]
	s_or_b64 s[72:73], s[18:19], s[72:73]
	s_andn2_b64 s[18:19], s[74:75], exec
	s_and_b64 s[74:75], s[78:79], exec
	s_or_b64 s[74:75], s[18:19], s[74:75]
	s_andn2_b64 exec, exec, s[72:73]
	s_cbranch_execz .LBB4_31
.LBB4_26:                               ;   Parent Loop BB4_21 Depth=1
                                        ; =>  This Inner Loop Header: Depth=2
	s_sleep 1
	s_waitcnt vmcnt(0) lgkmcnt(0)
	flat_load_dwordx2 v[52:53], v[50:51] glc
	v_mov_b32_e32 v55, 1
	s_or_b64 s[78:79], s[78:79], exec
	s_or_b64 s[76:77], s[76:77], exec
                                        ; implicit-def: $vgpr10
	s_and_saveexec_b64 s[88:89], vcc
	s_cbranch_execz .LBB4_25
; %bb.27:                               ;   in Loop: Header=BB4_26 Depth=2
	s_add_i32 s28, s28, 1
	s_cmpk_lg_i32 s28, 0x2710
	s_cselect_b64 s[94:95], -1, 0
	s_cmpk_eq_i32 s28, 0x2710
	s_mov_b64 s[90:91], -1
	s_mov_b64 s[92:93], -1
                                        ; implicit-def: $vgpr10
	s_cbranch_scc1 .LBB4_29
; %bb.28:                               ;   in Loop: Header=BB4_26 Depth=2
	v_mov_b32_e32 v55, 1
	s_and_saveexec_b64 s[30:31], s[94:95]
	s_cbranch_execz .LBB4_24
	s_branch .LBB4_30
.LBB4_29:                               ;   in Loop: Header=BB4_26 Depth=2
	s_trap 2
	s_waitcnt vmcnt(0) lgkmcnt(0)
	ds_read_b64 v[10:11], v0
	s_andn2_b64 s[94:95], s[94:95], exec
	s_mov_b32 s28, 0
	s_mov_b64 s[92:93], 0
	s_waitcnt lgkmcnt(0)
	flat_load_dword v10, v[10:11] glc
	s_waitcnt vmcnt(0) lgkmcnt(0)
	buffer_wbinvl1_vol
	v_cmp_eq_u32_e64 s[18:19], 0, v10
	s_and_b64 s[18:19], s[18:19], exec
	s_or_b64 s[94:95], s[94:95], s[18:19]
	v_mov_b32_e32 v55, 1
	s_and_saveexec_b64 s[30:31], s[94:95]
	s_cbranch_execz .LBB4_24
.LBB4_30:                               ;   in Loop: Header=BB4_26 Depth=2
	s_waitcnt vmcnt(0) lgkmcnt(0)
	v_add_co_u32_e64 v19, s[18:19], 8, v52
	v_addc_co_u32_e64 v20, s[18:19], 0, v53, s[18:19]
	v_cmp_ge_u64_e64 s[18:19], v[19:20], v[17:18]
	v_mov_b32_e32 v55, 0
	s_or_b64 s[92:93], s[92:93], exec
	s_orn2_b64 s[90:91], s[18:19], exec
	s_branch .LBB4_24
.LBB4_31:                               ;   in Loop: Header=BB4_21 Depth=1
	s_or_b64 exec, exec, s[72:73]
	s_xor_b64 s[18:19], s[74:75], -1
	s_and_saveexec_b64 s[72:73], s[18:19]
	s_xor_b64 s[18:19], exec, s[72:73]
	s_cbranch_execz .LBB4_33
; %bb.32:                               ;   in Loop: Header=BB4_21 Depth=1
	v_mov_b32_e32 v55, 1
	s_waitcnt vmcnt(0) lgkmcnt(0)
	ds_write_b32 v0, v10
	s_trap 2
.LBB4_33:                               ;   in Loop: Header=BB4_21 Depth=1
	s_or_b64 exec, exec, s[18:19]
.LBB4_34:                               ;   in Loop: Header=BB4_21 Depth=1
	s_or_b64 exec, exec, s[62:63]
	s_and_saveexec_b64 s[18:19], s[8:9]
	s_cbranch_execz .LBB4_36
; %bb.35:                               ;   in Loop: Header=BB4_21 Depth=1
	buffer_load_dword v16, off, s[0:3], s32 offset:92 ; 4-byte Folded Reload
	v_and_b32_e32 v40, 0x7ffffff8, v15
	v_and_b32_e32 v10, 7, v15
	v_mad_u64_u32 v[10:11], s[62:63], v10, 24, v[13:14]
	v_cmp_eq_u64_e32 vcc, s[46:47], v[40:41]
	v_mov_b32_e32 v15, s23
	s_waitcnt vmcnt(0)
	v_cndmask_b32_e32 v15, v16, v15, vcc
	v_ashrrev_i32_e32 v16, 31, v15
	flat_store_dwordx2 v[10:11], v[15:16] offset:8
	s_waitcnt vmcnt(0)
.LBB4_36:                               ;   in Loop: Header=BB4_21 Depth=1
	s_or_b64 exec, exec, s[18:19]
	v_mov_b32_e32 v15, v17
	v_mov_b32_e32 v16, v18
.LBB4_37:                               ;   in Loop: Header=BB4_21 Depth=1
	s_or_b64 exec, exec, s[20:21]
	s_and_saveexec_b64 s[18:19], s[10:11]
	s_cbranch_execz .LBB4_56
; %bb.38:                               ;   in Loop: Header=BB4_21 Depth=1
	s_and_saveexec_b64 s[20:21], s[42:43]
	s_xor_b64 s[20:21], exec, s[20:21]
	s_cbranch_execz .LBB4_53
; %bb.39:                               ;   in Loop: Header=BB4_21 Depth=1
	s_and_saveexec_b64 s[62:63], s[12:13]
	s_cbranch_execz .LBB4_52
; %bb.40:                               ;   in Loop: Header=BB4_21 Depth=1
	s_mov_b64 s[74:75], exec
	v_mbcnt_lo_u32_b32 v10, s74, 0
	v_mbcnt_hi_u32_b32 v10, s75, v10
	v_cmp_eq_u32_e32 vcc, 0, v10
	s_waitcnt vmcnt(0) lgkmcnt(0)
	buffer_wbinvl1_vol
	s_and_saveexec_b64 s[72:73], vcc
	s_cbranch_execz .LBB4_42
; %bb.41:                               ;   in Loop: Header=BB4_21 Depth=1
	s_bcnt1_i32_b64 s28, s[74:75]
	v_mov_b32_e32 v40, s28
	ds_add_u64 v0, v[40:41]
	s_trap 2
.LBB4_42:                               ;   in Loop: Header=BB4_21 Depth=1
	s_or_b64 exec, exec, s[72:73]
	s_trap 2
	ds_read_b64 v[10:11], v0
	s_waitcnt lgkmcnt(0)
	buffer_load_dword v17, off, s[0:3], s32 offset:96 ; 4-byte Folded Reload
	s_waitcnt vmcnt(0)
	v_add_co_u32_e32 v2, vcc, v2, v17
	v_addc_co_u32_e32 v3, vcc, 0, v3, vcc
	v_cmp_lt_u64_e32 vcc, v[10:11], v[2:3]
	s_and_saveexec_b64 s[72:73], vcc
	s_cbranch_execz .LBB4_51
; %bb.43:                               ;   in Loop: Header=BB4_21 Depth=1
	s_mov_b32 s28, 0
	s_mov_b64 s[74:75], 0
                                        ; implicit-def: $sgpr76_sgpr77
                                        ; implicit-def: $sgpr78_sgpr79
	s_branch .LBB4_45
.LBB4_44:                               ;   in Loop: Header=BB4_45 Depth=2
	s_or_b64 exec, exec, s[90:91]
	s_and_b64 s[88:89], exec, s[92:93]
	s_or_b64 s[74:75], s[88:89], s[74:75]
	s_andn2_b64 s[76:77], s[76:77], exec
	s_and_b64 s[88:89], s[78:79], exec
	s_or_b64 s[76:77], s[76:77], s[88:89]
	s_andn2_b64 exec, exec, s[74:75]
	s_cbranch_execz .LBB4_49
.LBB4_45:                               ;   Parent Loop BB4_21 Depth=1
                                        ; =>  This Inner Loop Header: Depth=2
	s_add_i32 s28, s28, 1
	s_cmpk_lg_i32 s28, 0x2710
	s_cselect_b64 s[88:89], -1, 0
	s_and_b64 vcc, exec, s[88:89]
	s_cbranch_vccz .LBB4_47
; %bb.46:                               ;   in Loop: Header=BB4_45 Depth=2
	s_mov_b64 s[92:93], -1
	s_or_b64 s[78:79], s[78:79], exec
	s_and_saveexec_b64 s[90:91], s[88:89]
	s_cbranch_execz .LBB4_44
	s_branch .LBB4_48
.LBB4_47:                               ;   in Loop: Header=BB4_45 Depth=2
	s_trap 2
	ds_read_b64 v[10:11], v0
	s_andn2_b64 s[88:89], s[88:89], exec
	s_mov_b32 s28, 0
	s_waitcnt lgkmcnt(0)
	flat_load_dword v10, v[10:11] glc
	s_waitcnt vmcnt(0) lgkmcnt(0)
	buffer_wbinvl1_vol
	v_cmp_eq_u32_e32 vcc, 0, v10
	s_and_b64 s[90:91], vcc, exec
	s_or_b64 s[88:89], s[88:89], s[90:91]
	s_mov_b64 s[92:93], -1
	s_or_b64 s[78:79], s[78:79], exec
	s_and_saveexec_b64 s[90:91], s[88:89]
	s_cbranch_execz .LBB4_44
.LBB4_48:                               ;   in Loop: Header=BB4_45 Depth=2
	s_sleep 1
	s_trap 2
	ds_read_b64 v[10:11], v0
	s_waitcnt lgkmcnt(0)
	s_andn2_b64 s[78:79], s[78:79], exec
	v_cmp_ge_u64_e32 vcc, v[10:11], v[2:3]
	s_orn2_b64 s[92:93], vcc, exec
	s_branch .LBB4_44
.LBB4_49:                               ;   in Loop: Header=BB4_21 Depth=1
	s_or_b64 exec, exec, s[74:75]
	s_and_saveexec_b64 s[74:75], s[76:77]
	s_xor_b64 s[74:75], exec, s[74:75]
	s_cbranch_execz .LBB4_51
; %bb.50:                               ;   in Loop: Header=BB4_21 Depth=1
	v_mov_b32_e32 v10, 1
	ds_write_b32 v0, v10
	s_trap 2
.LBB4_51:                               ;   in Loop: Header=BB4_21 Depth=1
	s_or_b64 exec, exec, s[72:73]
	;;#ASMSTART
	s_wakeup
	;;#ASMEND
.LBB4_52:                               ;   in Loop: Header=BB4_21 Depth=1
	s_or_b64 exec, exec, s[62:63]
.LBB4_53:                               ;   in Loop: Header=BB4_21 Depth=1
	s_andn2_saveexec_b64 s[20:21], s[20:21]
	s_cbranch_execz .LBB4_55
; %bb.54:                               ;   in Loop: Header=BB4_21 Depth=1
	s_waitcnt vmcnt(0) lgkmcnt(0)
	buffer_wbinvl1_vol
	s_barrier
.LBB4_55:                               ;   in Loop: Header=BB4_21 Depth=1
	s_or_b64 exec, exec, s[20:21]
.LBB4_56:                               ;   in Loop: Header=BB4_21 Depth=1
	s_or_b64 exec, exec, s[18:19]
	buffer_load_dword v10, off, s[0:3], s32 offset:124 ; 4-byte Folded Reload
	v_add_u32_e32 v18, 1, v21
	v_mov_b32_e32 v29, v4
	s_waitcnt vmcnt(0)
	v_sub_u32_e32 v32, v9, v10
	v_cmp_lt_i32_e64 s[18:19], 0, v32
	v_and_b32_e32 v9, 7, v21
	s_and_saveexec_b64 s[20:21], s[18:19]
	s_cbranch_execz .LBB4_64
; %bb.57:                               ;   in Loop: Header=BB4_21 Depth=1
	buffer_load_dword v29, off, s[0:3], s32 offset:100 ; 4-byte Folded Reload
	buffer_load_dword v30, off, s[0:3], s32 offset:104 ; 4-byte Folded Reload
	buffer_load_dword v20, off, s[0:3], s32 offset:64 ; 4-byte Folded Reload
	buffer_load_dword v17, off, s[0:3], s32 offset:60 ; 4-byte Folded Reload
	s_waitcnt lgkmcnt(0)
	v_ashrrev_i32_e32 v11, 31, v0
	v_mul_lo_u32 v10, v9, s36
	s_waitcnt vmcnt(1)
	v_mad_u64_u32 v[27:28], s[62:63], v20, v0, v[29:30]
	s_waitcnt vmcnt(0)
	v_mul_lo_u32 v17, v17, v0
	v_mul_lo_u32 v19, v20, v11
	v_ashrrev_i32_e32 v11, 31, v10
	v_lshlrev_b64 v[10:11], 4, v[10:11]
	v_mul_lo_u32 v0, v20, v0
	v_add3_u32 v28, v17, v28, v19
	buffer_load_dword v17, off, s[0:3], s32 offset:200 ; 4-byte Folded Reload
	s_mov_b64 s[62:63], 0
	v_add_lshl_u32 v0, v29, v0, 3
	v_mov_b32_e32 v29, v4
	s_waitcnt vmcnt(0)
	v_add_co_u32_e32 v46, vcc, v17, v10
	buffer_load_dword v10, off, s[0:3], s32 offset:204 ; 4-byte Folded Reload
	s_waitcnt vmcnt(0)
	v_addc_co_u32_e32 v47, vcc, v10, v11, vcc
	v_mov_b32_e32 v10, v32
	s_branch .LBB4_59
.LBB4_58:                               ;   in Loop: Header=BB4_59 Depth=2
	s_or_b64 exec, exec, s[72:73]
	v_add_co_u32_e32 v27, vcc, v27, v12
	v_sub_u32_e32 v10, v10, v12
	v_addc_co_u32_e32 v28, vcc, 0, v28, vcc
	s_waitcnt vmcnt(0)
	v_alignbit_b32 v17, v30, v11, v0
	v_alignbit_b32 v19, v25, v30, v0
	v_mov_b32_e32 v20, v18
	v_cmp_gt_i32_e32 vcc, 1, v10
	global_store_dwordx4 v[46:47], v[17:20], off
	s_or_b64 s[62:63], vcc, s[62:63]
	v_add_co_u32_e32 v46, vcc, v46, v5
	v_add_u32_e32 v29, v29, v1
	v_add_u32_e32 v0, v0, v62
	v_addc_co_u32_e32 v47, vcc, v47, v6, vcc
	s_andn2_b64 exec, exec, s[62:63]
	s_cbranch_execz .LBB4_63
.LBB4_59:                               ;   Parent Loop BB4_21 Depth=1
                                        ; =>  This Inner Loop Header: Depth=2
	v_and_b32_e32 v19, -4, v27
	v_mov_b32_e32 v20, v28
	global_load_dword v11, v[19:20], off glc slc
	v_min_u32_e32 v17, 8, v10
	v_and_b32_e32 v25, 3, v27
	v_add_u32_e32 v40, v25, v17
	v_cmp_lt_u32_e32 vcc, 4, v40
	v_mov_b32_e32 v25, 0
	v_mov_b32_e32 v30, 0
	s_and_saveexec_b64 s[72:73], vcc
	s_cbranch_execz .LBB4_61
; %bb.60:                               ;   in Loop: Header=BB4_59 Depth=2
	global_load_dword v30, v[19:20], off offset:4 glc slc
.LBB4_61:                               ;   in Loop: Header=BB4_59 Depth=2
	s_or_b64 exec, exec, s[72:73]
	v_cmp_lt_u64_e32 vcc, 8, v[40:41]
	s_and_saveexec_b64 s[72:73], vcc
	s_cbranch_execz .LBB4_58
; %bb.62:                               ;   in Loop: Header=BB4_59 Depth=2
	global_load_dword v25, v[19:20], off offset:8 glc slc
	s_branch .LBB4_58
.LBB4_63:                               ;   in Loop: Header=BB4_21 Depth=1
	s_or_b64 exec, exec, s[62:63]
.LBB4_64:                               ;   in Loop: Header=BB4_21 Depth=1
	s_or_b64 exec, exec, s[20:21]
	v_and_b32_e32 v40, 0x7ffffff8, v21
	v_cmp_eq_u64_e32 vcc, s[46:47], v[40:41]
	v_cmp_gt_i32_e64 s[20:21], s36, v29
	s_and_b64 s[20:21], vcc, s[20:21]
	s_and_saveexec_b64 s[62:63], s[20:21]
	s_cbranch_execz .LBB4_67
; %bb.65:                               ;   in Loop: Header=BB4_21 Depth=1
	v_mul_lo_u32 v9, v9, s36
	v_ashrrev_i32_e32 v30, 31, v29
	v_lshlrev_b64 v[19:20], 4, v[29:30]
	v_mov_b32_e32 v17, v41
	v_ashrrev_i32_e32 v10, 31, v9
	v_lshlrev_b64 v[9:10], 4, v[9:10]
	s_mov_b64 s[72:73], 0
	s_waitcnt lgkmcnt(0)
	v_add_co_u32_e32 v0, vcc, v19, v9
	v_addc_co_u32_e32 v9, vcc, v20, v10, vcc
	v_add_co_u32_e32 v27, vcc, v36, v0
	v_addc_co_u32_e32 v28, vcc, v37, v9, vcc
.LBB4_66:                               ;   Parent Loop BB4_21 Depth=1
                                        ; =>  This Inner Loop Header: Depth=2
	v_mov_b32_e32 v19, v17
	v_mov_b32_e32 v20, v18
	v_add_u32_e32 v29, v29, v1
	global_store_dwordx4 v[27:28], v[17:20], off
	v_add_co_u32_e32 v27, vcc, v27, v5
	v_cmp_le_i32_e64 s[20:21], s36, v29
	s_or_b64 s[72:73], s[20:21], s[72:73]
	v_addc_co_u32_e32 v28, vcc, v28, v6, vcc
	s_andn2_b64 exec, exec, s[72:73]
	s_cbranch_execnz .LBB4_66
.LBB4_67:                               ;   in Loop: Header=BB4_21 Depth=1
	s_or_b64 exec, exec, s[62:63]
	buffer_load_dword v9, off, s[0:3], s32 offset:128 ; 4-byte Folded Reload
	buffer_load_dword v10, off, s[0:3], s32 offset:132 ; 4-byte Folded Reload
	v_add_co_u32_e64 v46, s[20:21], 1, v21
	v_addc_co_u32_e64 v47, s[20:21], 0, v22, s[20:21]
	s_waitcnt vmcnt(0)
	v_add_co_u32_e32 v9, vcc, v42, v9
	buffer_store_dword v42, off, s[0:3], s32 offset:108 ; 4-byte Folded Spill
	s_nop 0
	buffer_store_dword v43, off, s[0:3], s32 offset:112 ; 4-byte Folded Spill
	v_addc_co_u32_e32 v10, vcc, v43, v10, vcc
	s_andn2_b64 vcc, exec, s[44:45]
	buffer_store_dword v9, off, s[0:3], s32 offset:116 ; 4-byte Folded Spill
	buffer_store_dword v10, off, s[0:3], s32 offset:120 ; 4-byte Folded Spill
	s_cbranch_vccnz .LBB4_502
; %bb.68:                               ;   in Loop: Header=BB4_21 Depth=1
	s_waitcnt lgkmcnt(0)
	buffer_load_dword v0, off, s[0:3], s32 offset:184 ; 4-byte Folded Reload
	v_add_u16_e32 v49, 1, v21
	s_mov_b32 s50, 2
	s_waitcnt vmcnt(0)
	v_add_co_u32_e32 v9, vcc, v0, v9
	buffer_load_dword v0, off, s[0:3], s32 offset:188 ; 4-byte Folded Reload
	s_waitcnt vmcnt(0)
	v_addc_co_u32_e32 v10, vcc, v0, v10, vcc
	buffer_store_dword v9, off, s[0:3], s32 offset:84 ; 4-byte Folded Spill
	s_nop 0
	buffer_store_dword v10, off, s[0:3], s32 offset:88 ; 4-byte Folded Spill
	s_branch .LBB4_70
.LBB4_69:                               ;   in Loop: Header=BB4_70 Depth=2
	s_or_b64 exec, exec, s[62:63]
	v_add_co_u32_e32 v34, vcc, 1, v34
	v_addc_co_u32_e32 v35, vcc, 0, v35, vcc
	s_add_i32 s50, s50, 1
	v_add_co_u32_e32 v46, vcc, 1, v46
	v_addc_co_u32_e32 v47, vcc, 0, v47, vcc
	s_cmp_eq_u32 s50, s22
	v_add_u16_e32 v49, 1, v49
	s_cbranch_scc1 .LBB4_501
.LBB4_70:                               ;   Parent Loop BB4_21 Depth=1
                                        ; =>  This Loop Header: Depth=2
                                        ;       Child Loop BB4_75 Depth 3
                                        ;       Child Loop BB4_94 Depth 3
	;; [unrolled: 1-line block ×3, first 2 shown]
                                        ;         Child Loop BB4_116 Depth 4
                                        ;       Child Loop BB4_484 Depth 3
                                        ;       Child Loop BB4_493 Depth 3
	s_sub_i32 s28, s22, s50
	s_lshl_b64 s[20:21], s[28:29], 2
	s_waitcnt vmcnt(0) lgkmcnt(0)
	v_mov_b32_e32 v0, s21
	v_add_co_u32_e32 v9, vcc, s20, v23
	v_addc_co_u32_e32 v10, vcc, v24, v0, vcc
	flat_load_dword v0, v[9:10]
	s_and_saveexec_b64 s[62:63], s[6:7]
	s_cbranch_execz .LBB4_86
; %bb.71:                               ;   in Loop: Header=BB4_70 Depth=2
	v_add_co_u32_e32 v17, vcc, 1, v15
	v_addc_co_u32_e32 v18, vcc, 0, v16, vcc
	v_add_co_u32_e32 v9, vcc, 8, v52
	v_addc_co_u32_e32 v10, vcc, 0, v53, vcc
	v_cmp_lt_u64_e32 vcc, v[9:10], v[17:18]
	s_and_saveexec_b64 s[72:73], vcc
	s_cbranch_execz .LBB4_83
; %bb.72:                               ;   in Loop: Header=BB4_70 Depth=2
	s_mov_b32 s28, 0
	v_cmp_eq_u32_e32 vcc, 0, v55
	s_mov_b64 s[74:75], 0
                                        ; implicit-def: $sgpr76_sgpr77
                                        ; implicit-def: $sgpr78_sgpr79
                                        ; implicit-def: $sgpr88_sgpr89
	s_branch .LBB4_75
.LBB4_73:                               ;   in Loop: Header=BB4_75 Depth=3
	s_or_b64 exec, exec, s[34:35]
	s_andn2_b64 s[20:21], s[88:89], exec
	s_and_b64 s[88:89], s[94:95], exec
	s_or_b64 s[88:89], s[20:21], s[88:89]
	s_andn2_b64 s[20:21], s[78:79], exec
	s_and_b64 s[78:79], s[92:93], exec
	s_or_b64 s[78:79], s[20:21], s[78:79]
.LBB4_74:                               ;   in Loop: Header=BB4_75 Depth=3
	s_or_b64 exec, exec, s[90:91]
	s_and_b64 s[20:21], exec, s[78:79]
	s_or_b64 s[74:75], s[20:21], s[74:75]
	s_andn2_b64 s[20:21], s[76:77], exec
	s_and_b64 s[76:77], s[88:89], exec
	s_or_b64 s[76:77], s[20:21], s[76:77]
	s_andn2_b64 exec, exec, s[74:75]
	s_cbranch_execz .LBB4_80
.LBB4_75:                               ;   Parent Loop BB4_21 Depth=1
                                        ;     Parent Loop BB4_70 Depth=2
                                        ; =>    This Inner Loop Header: Depth=3
	s_sleep 1
	s_waitcnt vmcnt(0) lgkmcnt(0)
	flat_load_dwordx2 v[52:53], v[50:51] glc
	v_mov_b32_e32 v55, 1
	s_or_b64 s[88:89], s[88:89], exec
	s_or_b64 s[78:79], s[78:79], exec
                                        ; implicit-def: $vgpr9
	s_and_saveexec_b64 s[90:91], vcc
	s_cbranch_execz .LBB4_74
; %bb.76:                               ;   in Loop: Header=BB4_75 Depth=3
	s_add_i32 s28, s28, 1
	s_cmpk_lg_i32 s28, 0x2710
	s_cselect_b64 s[30:31], -1, 0
	s_cmpk_eq_i32 s28, 0x2710
	s_mov_b64 s[92:93], -1
	s_mov_b64 s[94:95], -1
                                        ; implicit-def: $vgpr9
	s_cbranch_scc1 .LBB4_78
; %bb.77:                               ;   in Loop: Header=BB4_75 Depth=3
	v_mov_b32_e32 v55, 1
	s_and_saveexec_b64 s[34:35], s[30:31]
	s_cbranch_execz .LBB4_73
	s_branch .LBB4_79
.LBB4_78:                               ;   in Loop: Header=BB4_75 Depth=3
	s_trap 2
	s_waitcnt vmcnt(0) lgkmcnt(0)
	ds_read_b64 v[9:10], v0
	s_andn2_b64 s[30:31], s[30:31], exec
	s_mov_b32 s28, 0
	s_mov_b64 s[94:95], 0
	s_waitcnt lgkmcnt(0)
	flat_load_dword v9, v[9:10] glc
	s_waitcnt vmcnt(0) lgkmcnt(0)
	buffer_wbinvl1_vol
	v_cmp_eq_u32_e64 s[20:21], 0, v9
	s_and_b64 s[20:21], s[20:21], exec
	s_or_b64 s[30:31], s[30:31], s[20:21]
	v_mov_b32_e32 v55, 1
	s_and_saveexec_b64 s[34:35], s[30:31]
	s_cbranch_execz .LBB4_73
.LBB4_79:                               ;   in Loop: Header=BB4_75 Depth=3
	s_waitcnt vmcnt(0) lgkmcnt(0)
	v_add_co_u32_e64 v10, s[20:21], 8, v52
	v_addc_co_u32_e64 v11, s[20:21], 0, v53, s[20:21]
	v_cmp_ge_u64_e64 s[20:21], v[10:11], v[17:18]
	v_mov_b32_e32 v55, 0
	s_or_b64 s[94:95], s[94:95], exec
	s_orn2_b64 s[92:93], s[20:21], exec
	s_branch .LBB4_73
.LBB4_80:                               ;   in Loop: Header=BB4_70 Depth=2
	s_or_b64 exec, exec, s[74:75]
	s_xor_b64 s[20:21], s[76:77], -1
	s_and_saveexec_b64 s[74:75], s[20:21]
	s_xor_b64 s[20:21], exec, s[74:75]
	s_cbranch_execz .LBB4_82
; %bb.81:                               ;   in Loop: Header=BB4_70 Depth=2
	v_mov_b32_e32 v55, 1
	s_waitcnt vmcnt(0) lgkmcnt(0)
	ds_write_b32 v0, v9
	s_trap 2
.LBB4_82:                               ;   in Loop: Header=BB4_70 Depth=2
	s_or_b64 exec, exec, s[20:21]
.LBB4_83:                               ;   in Loop: Header=BB4_70 Depth=2
	s_or_b64 exec, exec, s[72:73]
	s_and_saveexec_b64 s[20:21], s[8:9]
	s_cbranch_execz .LBB4_85
; %bb.84:                               ;   in Loop: Header=BB4_70 Depth=2
	v_and_b32_e32 v40, 0x7ffffff8, v15
	v_and_b32_e32 v9, 7, v15
	buffer_load_dword v15, off, s[0:3], s32 offset:92 ; 4-byte Folded Reload
	v_mad_u64_u32 v[9:10], s[72:73], v9, 24, v[13:14]
	v_cmp_eq_u64_e32 vcc, s[46:47], v[40:41]
	v_mov_b32_e32 v11, s23
	s_waitcnt vmcnt(0)
	v_cndmask_b32_e32 v15, v15, v11, vcc
	v_ashrrev_i32_e32 v16, 31, v15
	flat_store_dwordx2 v[9:10], v[15:16] offset:8
	s_waitcnt vmcnt(0)
.LBB4_85:                               ;   in Loop: Header=BB4_70 Depth=2
	s_or_b64 exec, exec, s[20:21]
	v_mov_b32_e32 v15, v17
	v_mov_b32_e32 v16, v18
.LBB4_86:                               ;   in Loop: Header=BB4_70 Depth=2
	s_or_b64 exec, exec, s[62:63]
	s_and_saveexec_b64 s[20:21], s[10:11]
	s_cbranch_execz .LBB4_105
; %bb.87:                               ;   in Loop: Header=BB4_70 Depth=2
	s_and_saveexec_b64 s[62:63], s[42:43]
	s_xor_b64 s[62:63], exec, s[62:63]
	s_cbranch_execz .LBB4_102
; %bb.88:                               ;   in Loop: Header=BB4_70 Depth=2
	s_and_saveexec_b64 s[72:73], s[12:13]
	s_cbranch_execz .LBB4_101
; %bb.89:                               ;   in Loop: Header=BB4_70 Depth=2
	s_mov_b64 s[76:77], exec
	v_mbcnt_lo_u32_b32 v9, s76, 0
	v_mbcnt_hi_u32_b32 v9, s77, v9
	v_cmp_eq_u32_e32 vcc, 0, v9
	s_waitcnt vmcnt(0) lgkmcnt(0)
	buffer_wbinvl1_vol
	s_and_saveexec_b64 s[74:75], vcc
	s_cbranch_execz .LBB4_91
; %bb.90:                               ;   in Loop: Header=BB4_70 Depth=2
	s_bcnt1_i32_b64 s28, s[76:77]
	v_mov_b32_e32 v40, s28
	ds_add_u64 v0, v[40:41]
	s_trap 2
.LBB4_91:                               ;   in Loop: Header=BB4_70 Depth=2
	s_or_b64 exec, exec, s[74:75]
	s_trap 2
	ds_read_b64 v[9:10], v0
	s_waitcnt lgkmcnt(0)
	buffer_load_dword v11, off, s[0:3], s32 offset:96 ; 4-byte Folded Reload
	s_waitcnt vmcnt(0)
	v_add_co_u32_e32 v2, vcc, v2, v11
	v_addc_co_u32_e32 v3, vcc, 0, v3, vcc
	v_cmp_lt_u64_e32 vcc, v[9:10], v[2:3]
	s_and_saveexec_b64 s[74:75], vcc
	s_cbranch_execz .LBB4_100
; %bb.92:                               ;   in Loop: Header=BB4_70 Depth=2
	s_mov_b32 s28, 0
	s_mov_b64 s[76:77], 0
                                        ; implicit-def: $sgpr78_sgpr79
                                        ; implicit-def: $sgpr88_sgpr89
	s_branch .LBB4_94
.LBB4_93:                               ;   in Loop: Header=BB4_94 Depth=3
	s_or_b64 exec, exec, s[92:93]
	s_and_b64 s[90:91], exec, s[94:95]
	s_or_b64 s[76:77], s[90:91], s[76:77]
	s_andn2_b64 s[78:79], s[78:79], exec
	s_and_b64 s[90:91], s[88:89], exec
	s_or_b64 s[78:79], s[78:79], s[90:91]
	s_andn2_b64 exec, exec, s[76:77]
	s_cbranch_execz .LBB4_98
.LBB4_94:                               ;   Parent Loop BB4_21 Depth=1
                                        ;     Parent Loop BB4_70 Depth=2
                                        ; =>    This Inner Loop Header: Depth=3
	s_add_i32 s28, s28, 1
	s_cmpk_lg_i32 s28, 0x2710
	s_cselect_b64 s[90:91], -1, 0
	s_and_b64 vcc, exec, s[90:91]
	s_cbranch_vccz .LBB4_96
; %bb.95:                               ;   in Loop: Header=BB4_94 Depth=3
	s_mov_b64 s[94:95], -1
	s_or_b64 s[88:89], s[88:89], exec
	s_and_saveexec_b64 s[92:93], s[90:91]
	s_cbranch_execz .LBB4_93
	s_branch .LBB4_97
.LBB4_96:                               ;   in Loop: Header=BB4_94 Depth=3
	s_trap 2
	ds_read_b64 v[9:10], v0
	s_andn2_b64 s[90:91], s[90:91], exec
	s_mov_b32 s28, 0
	s_waitcnt lgkmcnt(0)
	flat_load_dword v9, v[9:10] glc
	s_waitcnt vmcnt(0) lgkmcnt(0)
	buffer_wbinvl1_vol
	v_cmp_eq_u32_e32 vcc, 0, v9
	s_and_b64 s[92:93], vcc, exec
	s_or_b64 s[90:91], s[90:91], s[92:93]
	s_mov_b64 s[94:95], -1
	s_or_b64 s[88:89], s[88:89], exec
	s_and_saveexec_b64 s[92:93], s[90:91]
	s_cbranch_execz .LBB4_93
.LBB4_97:                               ;   in Loop: Header=BB4_94 Depth=3
	s_sleep 1
	s_trap 2
	ds_read_b64 v[9:10], v0
	s_waitcnt lgkmcnt(0)
	s_andn2_b64 s[88:89], s[88:89], exec
	v_cmp_ge_u64_e32 vcc, v[9:10], v[2:3]
	s_orn2_b64 s[94:95], vcc, exec
	s_branch .LBB4_93
.LBB4_98:                               ;   in Loop: Header=BB4_70 Depth=2
	s_or_b64 exec, exec, s[76:77]
	s_and_saveexec_b64 s[76:77], s[78:79]
	s_xor_b64 s[76:77], exec, s[76:77]
	s_cbranch_execz .LBB4_100
; %bb.99:                               ;   in Loop: Header=BB4_70 Depth=2
	v_mov_b32_e32 v9, 1
	ds_write_b32 v0, v9
	s_trap 2
.LBB4_100:                              ;   in Loop: Header=BB4_70 Depth=2
	s_or_b64 exec, exec, s[74:75]
	;;#ASMSTART
	s_wakeup
	;;#ASMEND
.LBB4_101:                              ;   in Loop: Header=BB4_70 Depth=2
	s_or_b64 exec, exec, s[72:73]
.LBB4_102:                              ;   in Loop: Header=BB4_70 Depth=2
	s_andn2_saveexec_b64 s[62:63], s[62:63]
	s_cbranch_execz .LBB4_104
; %bb.103:                              ;   in Loop: Header=BB4_70 Depth=2
	s_waitcnt vmcnt(0) lgkmcnt(0)
	buffer_wbinvl1_vol
	s_barrier
.LBB4_104:                              ;   in Loop: Header=BB4_70 Depth=2
	s_or_b64 exec, exec, s[62:63]
.LBB4_105:                              ;   in Loop: Header=BB4_70 Depth=2
	s_or_b64 exec, exec, s[20:21]
	v_add_u32_e32 v18, 1, v46
	v_mov_b32_e32 v58, v4
	s_and_saveexec_b64 s[62:63], s[18:19]
	s_cbranch_execz .LBB4_476
; %bb.106:                              ;   in Loop: Header=BB4_70 Depth=2
	buffer_load_dword v11, off, s[0:3], s32 offset:64 ; 4-byte Folded Reload
	buffer_load_dword v19, off, s[0:3], s32 offset:84 ; 4-byte Folded Reload
	;; [unrolled: 1-line block ×4, first 2 shown]
	s_waitcnt vmcnt(0) lgkmcnt(0)
	v_ashrrev_i32_e32 v9, 31, v0
	s_mov_b64 s[72:73], 0
	v_mov_b32_e32 v58, v4
	v_mad_u64_u32 v[60:61], s[20:21], v11, v0, v[19:20]
	buffer_load_dword v20, off, s[0:3], s32 offset:76 ; 4-byte Folded Reload
	buffer_load_dword v21, off, s[0:3], s32 offset:80 ; 4-byte Folded Reload
	v_mul_lo_u32 v0, v10, v0
	v_mul_lo_u32 v10, v11, v9
	v_and_b32_e32 v9, 7, v34
	v_mul_lo_u32 v9, v9, s36
	v_add3_u32 v61, v0, v61, v10
	v_and_b32_e32 v0, 7, v46
	v_mul_lo_u32 v19, v0, s36
	v_ashrrev_i32_e32 v10, 31, v9
	v_lshlrev_b64 v[9:10], 4, v[9:10]
	s_waitcnt vmcnt(1)
	v_add_co_u32_e32 v31, vcc, v20, v9
	v_ashrrev_i32_e32 v20, 31, v19
	s_waitcnt vmcnt(0)
	v_addc_co_u32_e32 v48, vcc, v21, v10, vcc
	v_lshlrev_b64 v[10:11], 4, v[19:20]
	v_add_u32_e32 v9, 1, v34
	v_add_co_u32_e32 v10, vcc, v36, v10
	v_addc_co_u32_e32 v25, vcc, v37, v11, vcc
	v_mov_b32_e32 v11, v32
	s_branch .LBB4_108
.LBB4_107:                              ;   in Loop: Header=BB4_108 Depth=3
	s_or_b64 exec, exec, s[20:21]
	v_add_co_u32_e32 v60, vcc, v60, v12
	v_addc_co_u32_e32 v61, vcc, 0, v61, vcc
	v_add_co_u32_e32 v21, vcc, v10, v29
	v_lshlrev_b32_e32 v0, 8, v59
	v_lshlrev_b32_e32 v19, 16, v42
	;; [unrolled: 1-line block ×5, first 2 shown]
	v_addc_co_u32_e32 v22, vcc, v25, v30, vcc
	v_sub_u32_e32 v11, v11, v12
	v_or3_b32 v0, v0, v33, v19
	v_lshlrev_b32_e32 v19, 24, v43
	v_or3_b32 v20, v20, v44, v17
	v_cmp_gt_i32_e32 vcc, 1, v11
	v_or3_b32 v17, v0, v19, 0
	v_or3_b32 v19, v20, v28, 0
	v_mov_b32_e32 v20, v18
	s_or_b64 s[72:73], vcc, s[72:73]
	v_add_u32_e32 v58, v58, v1
	global_store_dwordx4 v[21:22], v[17:20], off
	s_andn2_b64 exec, exec, s[72:73]
	s_cbranch_execz .LBB4_488
.LBB4_108:                              ;   Parent Loop BB4_21 Depth=1
                                        ;     Parent Loop BB4_70 Depth=2
                                        ; =>    This Loop Header: Depth=3
                                        ;         Child Loop BB4_116 Depth 4
	v_and_b32_e32 v19, -4, v60
	v_mov_b32_e32 v20, v61
	global_load_dword v0, v[19:20], off glc slc
	v_min_u32_e32 v17, 8, v11
	v_and_b32_e32 v21, 3, v60
	v_add_u32_e32 v40, v21, v17
	v_cmp_lt_u32_e32 vcc, 4, v40
	v_mov_b32_e32 v44, 0
	v_mov_b32_e32 v45, 0
	s_and_saveexec_b64 s[20:21], vcc
	s_cbranch_execz .LBB4_110
; %bb.109:                              ;   in Loop: Header=BB4_108 Depth=3
	global_load_dword v45, v[19:20], off offset:4 glc slc
.LBB4_110:                              ;   in Loop: Header=BB4_108 Depth=3
	s_or_b64 exec, exec, s[20:21]
	v_cmp_lt_u64_e32 vcc, 8, v[40:41]
	s_and_saveexec_b64 s[20:21], vcc
	s_cbranch_execz .LBB4_112
; %bb.111:                              ;   in Loop: Header=BB4_108 Depth=3
	global_load_dword v44, v[19:20], off offset:8 glc slc
.LBB4_112:                              ;   in Loop: Header=BB4_108 Depth=3
	s_or_b64 exec, exec, s[20:21]
	v_mov_b32_e32 v59, v41
	v_lshlrev_b64 v[29:30], 4, v[58:59]
	v_add_co_u32_e32 v27, vcc, v31, v29
	v_addc_co_u32_e32 v28, vcc, v48, v30, vcc
	global_load_dwordx4 v[19:22], v[27:28], off glc slc
	v_cmp_eq_u32_e32 vcc, 0, v55
	v_mov_b32_e32 v55, 1
	s_and_saveexec_b64 s[74:75], vcc
	s_cbranch_execz .LBB4_124
; %bb.113:                              ;   in Loop: Header=BB4_108 Depth=3
	s_waitcnt vmcnt(0)
	v_cmp_ne_u32_e32 vcc, v9, v20
	v_cmp_ne_u32_e64 s[20:21], v9, v22
	s_or_b64 s[20:21], vcc, s[20:21]
	v_mov_b32_e32 v55, 0
	s_and_saveexec_b64 s[76:77], s[20:21]
	s_cbranch_execz .LBB4_123
; %bb.114:                              ;   in Loop: Header=BB4_108 Depth=3
	s_mov_b32 s28, 1
	s_mov_b64 s[88:89], 0
                                        ; implicit-def: $sgpr78_sgpr79
                                        ; implicit-def: $sgpr90_sgpr91
	s_branch .LBB4_116
.LBB4_115:                              ;   in Loop: Header=BB4_116 Depth=4
	s_or_b64 exec, exec, s[94:95]
	s_and_b64 s[20:21], exec, s[20:21]
	s_or_b64 s[88:89], s[20:21], s[88:89]
	s_andn2_b64 s[20:21], s[78:79], exec
	s_and_b64 s[78:79], s[90:91], exec
	s_or_b64 s[78:79], s[20:21], s[78:79]
	s_andn2_b64 exec, exec, s[88:89]
	s_cbranch_execz .LBB4_120
.LBB4_116:                              ;   Parent Loop BB4_21 Depth=1
                                        ;     Parent Loop BB4_70 Depth=2
                                        ;       Parent Loop BB4_108 Depth=3
                                        ; =>      This Inner Loop Header: Depth=4
	global_load_dwordx4 v[19:22], v[27:28], off glc slc
	s_add_i32 s28, s28, 1
	s_mov_b64 s[20:21], -1
	s_cmpk_lg_i32 s28, 0x2710
	s_mov_b64 s[92:93], -1
                                        ; implicit-def: $vgpr17
	s_cbranch_scc0 .LBB4_118
; %bb.117:                              ;   in Loop: Header=BB4_116 Depth=4
	s_or_b64 s[90:91], s[90:91], exec
	s_and_saveexec_b64 s[94:95], s[92:93]
	s_cbranch_execz .LBB4_115
	s_branch .LBB4_119
.LBB4_118:                              ;   in Loop: Header=BB4_116 Depth=4
	s_trap 2
	ds_read_b64 v[42:43], v0
	s_mov_b32 s28, 0
	s_waitcnt vmcnt(0) lgkmcnt(0)
	flat_load_dword v17, v[42:43] glc
	s_waitcnt vmcnt(0) lgkmcnt(0)
	buffer_wbinvl1_vol
	v_cmp_eq_u32_e32 vcc, 0, v17
	s_orn2_b64 s[92:93], vcc, exec
	s_or_b64 s[90:91], s[90:91], exec
	s_and_saveexec_b64 s[94:95], s[92:93]
	s_cbranch_execz .LBB4_115
.LBB4_119:                              ;   in Loop: Header=BB4_116 Depth=4
	s_waitcnt vmcnt(0)
	v_cmp_eq_u32_e32 vcc, v9, v20
	v_cmp_eq_u32_e64 s[20:21], v9, v22
	s_and_b64 s[20:21], vcc, s[20:21]
	s_andn2_b64 s[90:91], s[90:91], exec
	s_orn2_b64 s[20:21], s[20:21], exec
	s_branch .LBB4_115
.LBB4_120:                              ;   in Loop: Header=BB4_108 Depth=3
	s_or_b64 exec, exec, s[88:89]
	v_mov_b32_e32 v55, 0
	s_and_saveexec_b64 s[20:21], s[78:79]
	s_xor_b64 s[20:21], exec, s[20:21]
	s_cbranch_execz .LBB4_122
; %bb.121:                              ;   in Loop: Header=BB4_108 Depth=3
	v_mov_b32_e32 v55, 1
	ds_write_b32 v0, v17
	s_trap 2
.LBB4_122:                              ;   in Loop: Header=BB4_108 Depth=3
	s_or_b64 exec, exec, s[20:21]
.LBB4_123:                              ;   in Loop: Header=BB4_108 Depth=3
	s_or_b64 exec, exec, s[76:77]
.LBB4_124:                              ;   in Loop: Header=BB4_108 Depth=3
	s_or_b64 exec, exec, s[74:75]
	s_waitcnt vmcnt(0)
	v_lshlrev_b32_e32 v22, 3, v60
	v_alignbit_b32 v40, v45, v0, v22
	v_cmp_ne_u16_sdwa s[20:21], v19, v41 src0_sel:BYTE_0 src1_sel:DWORD
                                        ; implicit-def: $vgpr17
	s_and_saveexec_b64 s[74:75], s[14:15]
	s_xor_b64 s[74:75], exec, s[74:75]
	s_cbranch_execz .LBB4_138
; %bb.125:                              ;   in Loop: Header=BB4_108 Depth=3
	v_mov_b32_e32 v17, 0
	v_mov_b32_e32 v0, 0
	s_and_saveexec_b64 s[76:77], s[20:21]
	s_cbranch_execz .LBB4_131
; %bb.126:                              ;   in Loop: Header=BB4_108 Depth=3
	v_cmp_ne_u16_sdwa s[88:89], v19, s38 src0_sel:BYTE_0 src1_sel:DWORD
	v_bfrev_b32_e32 v0, 1
	s_and_saveexec_b64 s[78:79], s[88:89]
	s_cbranch_execz .LBB4_130
; %bb.127:                              ;   in Loop: Header=BB4_108 Depth=3
	v_and_b32_e32 v27, 0x7f, v19
	v_cmp_ne_u32_e32 vcc, s39, v27
	v_mov_b32_e32 v0, 0x7f800001
	s_and_saveexec_b64 s[88:89], vcc
	s_cbranch_execz .LBB4_129
; %bb.128:                              ;   in Loop: Header=BB4_108 Depth=3
	v_and_b32_e32 v0, 7, v19
	v_ffbh_u32_e32 v0, v0
	v_min_u32_e32 v0, 32, v0
	v_lshrrev_b32_e32 v28, 3, v27
	v_cmp_gt_u32_e32 vcc, 8, v27
	v_subrev_u32_e32 v27, 28, v0
	v_sub_u32_e32 v0, 29, v0
	v_cndmask_b32_e32 v27, 0, v27, vcc
	v_cndmask_b32_e32 v0, v28, v0, vcc
	v_lshlrev_b64 v[27:28], v27, v[19:20]
	v_lshlrev_b32_e32 v28, 24, v19
	v_lshlrev_b32_e32 v27, 20, v27
	v_and_b32_e32 v27, 0x700000, v27
	v_and_b32_e32 v28, 0x80000000, v28
	v_lshl_add_u32 v0, v0, 23, v26
	v_or3_b32 v0, v28, v0, v27
.LBB4_129:                              ;   in Loop: Header=BB4_108 Depth=3
	s_or_b64 exec, exec, s[88:89]
.LBB4_130:                              ;   in Loop: Header=BB4_108 Depth=3
	s_or_b64 exec, exec, s[78:79]
.LBB4_131:                              ;   in Loop: Header=BB4_108 Depth=3
	s_or_b64 exec, exec, s[76:77]
	v_cmp_ne_u16_sdwa s[78:79], v40, v41 src0_sel:BYTE_0 src1_sel:DWORD
	s_and_saveexec_b64 s[76:77], s[78:79]
	s_cbranch_execz .LBB4_137
; %bb.132:                              ;   in Loop: Header=BB4_108 Depth=3
	v_cmp_ne_u16_sdwa s[88:89], v40, s38 src0_sel:BYTE_0 src1_sel:DWORD
	v_bfrev_b32_e32 v17, 1
	s_and_saveexec_b64 s[78:79], s[88:89]
	s_cbranch_execz .LBB4_136
; %bb.133:                              ;   in Loop: Header=BB4_108 Depth=3
	v_and_b32_e32 v27, 0x7f, v40
	v_cmp_ne_u32_e32 vcc, s39, v27
	v_mov_b32_e32 v17, 0x7f800001
	s_and_saveexec_b64 s[88:89], vcc
	s_cbranch_execz .LBB4_135
; %bb.134:                              ;   in Loop: Header=BB4_108 Depth=3
	v_and_b32_e32 v17, 7, v40
	v_ffbh_u32_e32 v17, v17
	v_min_u32_e32 v17, 32, v17
	v_lshrrev_b32_e32 v28, 3, v27
	v_cmp_gt_u32_e32 vcc, 8, v27
	v_subrev_u32_e32 v27, 28, v17
	v_sub_u32_e32 v17, 29, v17
	v_cndmask_b32_e32 v27, 0, v27, vcc
	v_cndmask_b32_e32 v17, v28, v17, vcc
	v_lshlrev_b64 v[27:28], v27, v[40:41]
	v_lshlrev_b32_e32 v28, 24, v40
	v_lshlrev_b32_e32 v27, 20, v27
	v_and_b32_e32 v27, 0x700000, v27
	v_and_b32_e32 v28, 0x80000000, v28
	v_lshl_add_u32 v17, v17, 23, v26
	v_or3_b32 v17, v28, v17, v27
.LBB4_135:                              ;   in Loop: Header=BB4_108 Depth=3
	s_or_b64 exec, exec, s[88:89]
.LBB4_136:                              ;   in Loop: Header=BB4_108 Depth=3
	s_or_b64 exec, exec, s[78:79]
.LBB4_137:                              ;   in Loop: Header=BB4_108 Depth=3
	s_or_b64 exec, exec, s[76:77]
	v_max_f32_e32 v17, v17, v17
	v_max_f32_e32 v0, v0, v0
	;; [unrolled: 1-line block ×3, first 2 shown]
.LBB4_138:                              ;   in Loop: Header=BB4_108 Depth=3
	s_andn2_saveexec_b64 s[74:75], s[74:75]
	s_cbranch_execz .LBB4_152
; %bb.139:                              ;   in Loop: Header=BB4_108 Depth=3
	v_mov_b32_e32 v17, 0
	v_mov_b32_e32 v0, 0
	s_and_saveexec_b64 s[76:77], s[20:21]
	s_cbranch_execz .LBB4_145
; %bb.140:                              ;   in Loop: Header=BB4_108 Depth=3
	v_cmp_ne_u16_sdwa s[78:79], v19, s38 src0_sel:BYTE_0 src1_sel:DWORD
	v_bfrev_b32_e32 v0, 1
	s_and_saveexec_b64 s[20:21], s[78:79]
	s_cbranch_execz .LBB4_144
; %bb.141:                              ;   in Loop: Header=BB4_108 Depth=3
	v_and_b32_e32 v27, 0x7f, v19
	v_cmp_ne_u32_e32 vcc, s39, v27
	v_mov_b32_e32 v0, 0x7f800001
	s_and_saveexec_b64 s[78:79], vcc
	s_cbranch_execz .LBB4_143
; %bb.142:                              ;   in Loop: Header=BB4_108 Depth=3
	v_and_b32_e32 v0, 7, v19
	v_ffbh_u32_e32 v0, v0
	v_min_u32_e32 v0, 32, v0
	v_lshrrev_b32_e32 v28, 3, v27
	v_cmp_gt_u32_e32 vcc, 8, v27
	v_subrev_u32_e32 v27, 28, v0
	v_sub_u32_e32 v0, 29, v0
	v_cndmask_b32_e32 v27, 0, v27, vcc
	v_cndmask_b32_e32 v0, v28, v0, vcc
	v_lshlrev_b64 v[27:28], v27, v[19:20]
	v_lshl_add_u32 v0, v0, 23, v26
	v_lshlrev_b32_e32 v20, 20, v27
	v_lshlrev_b32_e32 v27, 24, v19
	v_and_b32_e32 v20, 0x700000, v20
	v_and_b32_e32 v27, 0x80000000, v27
	v_or3_b32 v0, v27, v0, v20
.LBB4_143:                              ;   in Loop: Header=BB4_108 Depth=3
	s_or_b64 exec, exec, s[78:79]
.LBB4_144:                              ;   in Loop: Header=BB4_108 Depth=3
	s_or_b64 exec, exec, s[20:21]
.LBB4_145:                              ;   in Loop: Header=BB4_108 Depth=3
	s_or_b64 exec, exec, s[76:77]
	v_cmp_ne_u16_sdwa s[76:77], v40, v41 src0_sel:BYTE_0 src1_sel:DWORD
	s_and_saveexec_b64 s[20:21], s[76:77]
	s_cbranch_execz .LBB4_151
; %bb.146:                              ;   in Loop: Header=BB4_108 Depth=3
	v_cmp_ne_u16_sdwa s[78:79], v40, s38 src0_sel:BYTE_0 src1_sel:DWORD
	v_bfrev_b32_e32 v17, 1
	s_and_saveexec_b64 s[76:77], s[78:79]
	s_cbranch_execz .LBB4_150
; %bb.147:                              ;   in Loop: Header=BB4_108 Depth=3
	v_and_b32_e32 v20, 0x7f, v40
	v_cmp_ne_u32_e32 vcc, s39, v20
	v_mov_b32_e32 v17, 0x7f800001
	s_and_saveexec_b64 s[78:79], vcc
	s_cbranch_execz .LBB4_149
; %bb.148:                              ;   in Loop: Header=BB4_108 Depth=3
	v_and_b32_e32 v17, 7, v40
	v_ffbh_u32_e32 v17, v17
	v_min_u32_e32 v17, 32, v17
	v_lshrrev_b32_e32 v27, 3, v20
	v_cmp_gt_u32_e32 vcc, 8, v20
	v_subrev_u32_e32 v20, 28, v17
	v_sub_u32_e32 v17, 29, v17
	v_cndmask_b32_e32 v20, 0, v20, vcc
	v_cndmask_b32_e32 v17, v27, v17, vcc
	v_lshlrev_b64 v[27:28], v20, v[40:41]
	v_lshl_add_u32 v17, v17, 23, v26
	v_lshlrev_b32_e32 v20, 20, v27
	v_lshlrev_b32_e32 v27, 24, v40
	v_and_b32_e32 v20, 0x700000, v20
	v_and_b32_e32 v27, 0x80000000, v27
	v_or3_b32 v17, v27, v17, v20
.LBB4_149:                              ;   in Loop: Header=BB4_108 Depth=3
	s_or_b64 exec, exec, s[78:79]
.LBB4_150:                              ;   in Loop: Header=BB4_108 Depth=3
	s_or_b64 exec, exec, s[76:77]
.LBB4_151:                              ;   in Loop: Header=BB4_108 Depth=3
	s_or_b64 exec, exec, s[20:21]
	v_max_f32_e32 v17, v17, v17
	v_max_f32_e32 v0, v0, v0
	v_min_f32_e32 v17, v0, v17
.LBB4_152:                              ;   in Loop: Header=BB4_108 Depth=3
	s_or_b64 exec, exec, s[74:75]
	v_and_b32_e32 v27, 0x7f800000, v17
	v_mov_b32_e32 v28, v41
	v_cmp_ne_u64_e32 vcc, s[56:57], v[27:28]
                                        ; implicit-def: $vgpr33
	s_and_saveexec_b64 s[20:21], vcc
	s_xor_b64 s[74:75], exec, s[20:21]
	s_cbranch_execz .LBB4_166
; %bb.153:                              ;   in Loop: Header=BB4_108 Depth=3
	v_and_b32_e32 v27, 0x7fffffff, v17
	v_mov_b32_e32 v28, v41
	v_cmp_gt_u64_e32 vcc, s[58:59], v[27:28]
	v_and_b32_sdwa v0, v17, s38 dst_sel:DWORD dst_unused:UNUSED_PAD src0_sel:BYTE_3 src1_sel:DWORD
                                        ; implicit-def: $vgpr33
	s_and_saveexec_b64 s[20:21], vcc
	s_xor_b64 s[76:77], exec, s[20:21]
	s_cbranch_execz .LBB4_163
; %bb.154:                              ;   in Loop: Header=BB4_108 Depth=3
	v_mov_b32_e32 v33, 0
	v_cmp_ne_u32_e32 vcc, 0, v17
	s_and_saveexec_b64 s[78:79], vcc
	s_cbranch_execz .LBB4_162
; %bb.155:                              ;   in Loop: Header=BB4_108 Depth=3
	v_and_b32_e32 v27, 0x7fffff, v17
	v_bfe_u32 v17, v17, 23, 8
	v_cmp_gt_u32_e64 s[20:21], s48, v17
	v_sub_u32_e32 v20, 0x79, v17
	v_cmp_eq_u32_e32 vcc, 0, v17
	v_cndmask_b32_e64 v20, 0, v20, s[20:21]
	v_cndmask_b32_e32 v20, v20, v7, vcc
	v_add_u32_e32 v33, 20, v20
	v_or_b32_e32 v28, 0x800000, v27
	v_lshlrev_b64 v[42:43], v33, -1
	v_cndmask_b32_e32 v27, v28, v27, vcc
	v_mov_b32_e32 v28, v41
	v_add_u32_e32 v33, 19, v20
	v_bfi_b32 v42, v42, 0, v27
	v_lshlrev_b64 v[56:57], v33, 1
	v_lshrrev_b64 v[27:28], v20, v[27:28]
	v_bfi_b32 v43, v43, 0, 0
	v_cmp_eq_u64_e64 s[20:21], v[42:43], v[56:57]
	v_mov_b32_e32 v43, v28
	v_mov_b32_e32 v42, v27
	s_and_saveexec_b64 s[88:89], s[20:21]
; %bb.156:                              ;   in Loop: Header=BB4_108 Depth=3
	v_bfe_u32 v28, v27, 20, 1
	v_add_co_u32_e64 v28, s[20:21], v27, v28
	v_add_co_u32_e64 v42, s[20:21], -1, v28
; %bb.157:                              ;   in Loop: Header=BB4_108 Depth=3
	s_or_b64 exec, exec, s[88:89]
	v_add_u32_e32 v17, 0xffffff81, v17
	v_cndmask_b32_e32 v17, v17, v8, vcc
	v_lshrrev_b32_e32 v28, 23, v27
	v_add3_u32 v33, v20, v17, v28
	v_add_u32_e32 v20, 6, v33
	v_and_b32_e32 v17, 0xfffff, v42
	v_add_u32_e32 v27, v17, v27
	v_mov_b32_e32 v28, v41
	v_cmp_ne_u32_e32 vcc, 0, v20
                                        ; implicit-def: $vgpr17
	s_and_saveexec_b64 s[20:21], vcc
	s_xor_b64 s[20:21], exec, s[20:21]
; %bb.158:                              ;   in Loop: Header=BB4_108 Depth=3
	v_cmp_lt_u64_e32 vcc, s[60:61], v[27:28]
	v_add_u32_e32 v17, 7, v33
	v_cndmask_b32_e32 v17, v20, v17, vcc
	v_cndmask_b32_e64 v20, 0, 1, vcc
	v_lshrrev_b64 v[27:28], v20, v[27:28]
; %bb.159:                              ;   in Loop: Header=BB4_108 Depth=3
	s_andn2_saveexec_b64 s[20:21], s[20:21]
; %bb.160:                              ;   in Loop: Header=BB4_108 Depth=3
	v_bfe_u32 v17, v27, 23, 1
; %bb.161:                              ;   in Loop: Header=BB4_108 Depth=3
	s_or_b64 exec, exec, s[20:21]
	v_lshrrev_b64 v[27:28], 20, v[27:28]
	v_cmp_gt_i32_e32 vcc, 16, v17
	v_cndmask_b32_e32 v28, 0, v28, vcc
	v_cndmask_b32_e32 v27, 7, v27, vcc
	v_cmp_eq_u32_e32 vcc, 0, v17
	v_min_i32_e32 v17, 15, v17
	v_cmp_eq_u64_e64 s[20:21], 0, v[27:28]
	v_lshlrev_b32_e32 v17, 3, v17
	v_and_b32_e32 v17, 0xf8, v17
	v_and_or_b32 v17, v27, 7, v17
	s_and_b64 s[20:21], vcc, s[20:21]
	v_cndmask_b32_e64 v17, v17, 0, s[20:21]
	v_or_b32_e32 v33, v17, v0
.LBB4_162:                              ;   in Loop: Header=BB4_108 Depth=3
	s_or_b64 exec, exec, s[78:79]
                                        ; implicit-def: $vgpr0
.LBB4_163:                              ;   in Loop: Header=BB4_108 Depth=3
	s_andn2_saveexec_b64 s[20:21], s[76:77]
; %bb.164:                              ;   in Loop: Header=BB4_108 Depth=3
	v_or_b32_e32 v33, 0x7e, v0
; %bb.165:                              ;   in Loop: Header=BB4_108 Depth=3
	s_or_b64 exec, exec, s[20:21]
                                        ; implicit-def: $vgpr17
.LBB4_166:                              ;   in Loop: Header=BB4_108 Depth=3
	s_andn2_saveexec_b64 s[20:21], s[74:75]
; %bb.167:                              ;   in Loop: Header=BB4_108 Depth=3
	v_or_b32_sdwa v33, v17, s39 dst_sel:DWORD dst_unused:UNUSED_PAD src0_sel:BYTE_3 src1_sel:DWORD
; %bb.168:                              ;   in Loop: Header=BB4_108 Depth=3
	s_or_b64 exec, exec, s[20:21]
	v_lshrrev_b16_e32 v17, 8, v19
	v_lshrrev_b16_e32 v0, 8, v40
	v_cmp_ne_u16_e32 vcc, 0, v17
                                        ; implicit-def: $vgpr20
	s_and_saveexec_b64 s[20:21], s[14:15]
	s_xor_b64 s[74:75], exec, s[20:21]
	s_cbranch_execz .LBB4_182
; %bb.169:                              ;   in Loop: Header=BB4_108 Depth=3
	v_mov_b32_e32 v27, 0
	v_mov_b32_e32 v20, 0
	s_and_saveexec_b64 s[76:77], vcc
	s_cbranch_execz .LBB4_175
; %bb.170:                              ;   in Loop: Header=BB4_108 Depth=3
	v_cmp_ne_u16_e64 s[20:21], s38, v17
	v_bfrev_b32_e32 v20, 1
	s_and_saveexec_b64 s[78:79], s[20:21]
	s_cbranch_execz .LBB4_174
; %bb.171:                              ;   in Loop: Header=BB4_108 Depth=3
	v_and_b32_e32 v28, 0x7f, v17
	v_cmp_ne_u32_e64 s[20:21], s39, v28
	v_mov_b32_e32 v20, 0x7f800001
	s_and_saveexec_b64 s[88:89], s[20:21]
	s_cbranch_execz .LBB4_173
; %bb.172:                              ;   in Loop: Header=BB4_108 Depth=3
	v_and_b32_e32 v20, 7, v17
	v_lshrrev_b32_e32 v56, 3, v28
	v_cmp_gt_u32_e64 s[20:21], 8, v28
	v_ffbh_u32_e32 v28, v20
	v_min_u32_e32 v28, 32, v28
	v_subrev_u32_e32 v42, 28, v28
	v_lshlrev_b64 v[42:43], v42, v[17:18]
	v_sub_u32_e32 v17, 29, v28
	v_and_b32_e32 v28, 7, v42
	v_cndmask_b32_e64 v17, v56, v17, s[20:21]
	v_cndmask_b32_e64 v20, v20, v28, s[20:21]
	v_lshlrev_b32_e32 v28, 16, v19
	v_lshlrev_b32_e32 v20, 20, v20
	v_and_b32_e32 v28, 0x80000000, v28
	v_lshl_add_u32 v17, v17, 23, v26
	v_or3_b32 v20, v28, v17, v20
.LBB4_173:                              ;   in Loop: Header=BB4_108 Depth=3
	s_or_b64 exec, exec, s[88:89]
.LBB4_174:                              ;   in Loop: Header=BB4_108 Depth=3
	s_or_b64 exec, exec, s[78:79]
.LBB4_175:                              ;   in Loop: Header=BB4_108 Depth=3
	s_or_b64 exec, exec, s[76:77]
	v_cmp_ne_u16_e64 s[20:21], 0, v0
	s_and_saveexec_b64 s[76:77], s[20:21]
	s_cbranch_execz .LBB4_181
; %bb.176:                              ;   in Loop: Header=BB4_108 Depth=3
	v_cmp_ne_u16_e64 s[20:21], s38, v0
	v_bfrev_b32_e32 v27, 1
	s_and_saveexec_b64 s[78:79], s[20:21]
	s_cbranch_execz .LBB4_180
; %bb.177:                              ;   in Loop: Header=BB4_108 Depth=3
	v_and_b32_e32 v17, 0x7f, v0
	v_cmp_ne_u32_e64 s[20:21], s39, v17
	v_mov_b32_e32 v27, 0x7f800001
	s_and_saveexec_b64 s[88:89], s[20:21]
	s_cbranch_execz .LBB4_179
; %bb.178:                              ;   in Loop: Header=BB4_108 Depth=3
	v_and_b32_e32 v42, 7, v0
	v_lshrrev_b32_e32 v43, 3, v17
	v_cmp_gt_u32_e64 s[20:21], 8, v17
	v_ffbh_u32_e32 v17, v42
	v_min_u32_e32 v17, 32, v17
	v_subrev_u32_e32 v27, 28, v17
	v_lshlrev_b64 v[27:28], v27, v[0:1]
	v_sub_u32_e32 v0, 29, v17
	v_and_b32_e32 v17, 7, v27
	v_cndmask_b32_e64 v0, v43, v0, s[20:21]
	v_cndmask_b32_e64 v17, v42, v17, s[20:21]
	v_lshlrev_b32_e32 v27, 16, v40
	v_lshlrev_b32_e32 v17, 20, v17
	v_and_b32_e32 v27, 0x80000000, v27
	v_lshl_add_u32 v0, v0, 23, v26
	v_or3_b32 v27, v27, v0, v17
.LBB4_179:                              ;   in Loop: Header=BB4_108 Depth=3
	s_or_b64 exec, exec, s[88:89]
.LBB4_180:                              ;   in Loop: Header=BB4_108 Depth=3
	s_or_b64 exec, exec, s[78:79]
.LBB4_181:                              ;   in Loop: Header=BB4_108 Depth=3
	s_or_b64 exec, exec, s[76:77]
	v_max_f32_e32 v0, v27, v27
	v_max_f32_e32 v17, v20, v20
	v_max_f32_e32 v20, v17, v0
                                        ; implicit-def: $vgpr0
                                        ; implicit-def: $vgpr17
.LBB4_182:                              ;   in Loop: Header=BB4_108 Depth=3
	s_andn2_saveexec_b64 s[20:21], s[74:75]
	s_cbranch_execz .LBB4_196
; %bb.183:                              ;   in Loop: Header=BB4_108 Depth=3
	v_mov_b32_e32 v27, 0
	v_mov_b32_e32 v20, 0
	s_and_saveexec_b64 s[74:75], vcc
	s_cbranch_execz .LBB4_189
; %bb.184:                              ;   in Loop: Header=BB4_108 Depth=3
	v_cmp_ne_u16_e32 vcc, s38, v17
	v_bfrev_b32_e32 v20, 1
	s_and_saveexec_b64 s[76:77], vcc
	s_cbranch_execz .LBB4_188
; %bb.185:                              ;   in Loop: Header=BB4_108 Depth=3
	v_and_b32_e32 v28, 0x7f, v17
	v_cmp_ne_u32_e32 vcc, s39, v28
	v_mov_b32_e32 v20, 0x7f800001
	s_and_saveexec_b64 s[78:79], vcc
	s_cbranch_execz .LBB4_187
; %bb.186:                              ;   in Loop: Header=BB4_108 Depth=3
	v_and_b32_e32 v20, 7, v17
	v_lshrrev_b32_e32 v56, 3, v28
	v_cmp_gt_u32_e32 vcc, 8, v28
	v_ffbh_u32_e32 v28, v20
	v_min_u32_e32 v28, 32, v28
	v_subrev_u32_e32 v42, 28, v28
	v_lshlrev_b64 v[42:43], v42, v[17:18]
	v_sub_u32_e32 v17, 29, v28
	v_and_b32_e32 v28, 7, v42
	v_cndmask_b32_e32 v17, v56, v17, vcc
	v_cndmask_b32_e32 v20, v20, v28, vcc
	v_lshlrev_b32_e32 v28, 16, v19
	v_lshlrev_b32_e32 v20, 20, v20
	v_and_b32_e32 v28, 0x80000000, v28
	v_lshl_add_u32 v17, v17, 23, v26
	v_or3_b32 v20, v28, v17, v20
.LBB4_187:                              ;   in Loop: Header=BB4_108 Depth=3
	s_or_b64 exec, exec, s[78:79]
.LBB4_188:                              ;   in Loop: Header=BB4_108 Depth=3
	s_or_b64 exec, exec, s[76:77]
.LBB4_189:                              ;   in Loop: Header=BB4_108 Depth=3
	s_or_b64 exec, exec, s[74:75]
	v_cmp_ne_u16_e32 vcc, 0, v0
	s_and_saveexec_b64 s[74:75], vcc
	s_cbranch_execz .LBB4_195
; %bb.190:                              ;   in Loop: Header=BB4_108 Depth=3
	v_cmp_ne_u16_e32 vcc, s38, v0
	v_bfrev_b32_e32 v27, 1
	s_and_saveexec_b64 s[76:77], vcc
	s_cbranch_execz .LBB4_194
; %bb.191:                              ;   in Loop: Header=BB4_108 Depth=3
	v_and_b32_e32 v17, 0x7f, v0
	v_cmp_ne_u32_e32 vcc, s39, v17
	v_mov_b32_e32 v27, 0x7f800001
	s_and_saveexec_b64 s[78:79], vcc
	s_cbranch_execz .LBB4_193
; %bb.192:                              ;   in Loop: Header=BB4_108 Depth=3
	v_and_b32_e32 v42, 7, v0
	v_lshrrev_b32_e32 v43, 3, v17
	v_cmp_gt_u32_e32 vcc, 8, v17
	v_ffbh_u32_e32 v17, v42
	v_min_u32_e32 v17, 32, v17
	v_subrev_u32_e32 v27, 28, v17
	v_lshlrev_b64 v[27:28], v27, v[0:1]
	v_sub_u32_e32 v0, 29, v17
	v_and_b32_e32 v17, 7, v27
	v_cndmask_b32_e32 v0, v43, v0, vcc
	v_cndmask_b32_e32 v17, v42, v17, vcc
	v_lshlrev_b32_e32 v27, 16, v40
	v_lshlrev_b32_e32 v17, 20, v17
	v_and_b32_e32 v27, 0x80000000, v27
	v_lshl_add_u32 v0, v0, 23, v26
	v_or3_b32 v27, v27, v0, v17
.LBB4_193:                              ;   in Loop: Header=BB4_108 Depth=3
	s_or_b64 exec, exec, s[78:79]
.LBB4_194:                              ;   in Loop: Header=BB4_108 Depth=3
	s_or_b64 exec, exec, s[76:77]
.LBB4_195:                              ;   in Loop: Header=BB4_108 Depth=3
	s_or_b64 exec, exec, s[74:75]
	v_max_f32_e32 v0, v27, v27
	v_max_f32_e32 v17, v20, v20
	v_min_f32_e32 v20, v17, v0
.LBB4_196:                              ;   in Loop: Header=BB4_108 Depth=3
	s_or_b64 exec, exec, s[20:21]
	v_and_b32_e32 v27, 0x7f800000, v20
	v_mov_b32_e32 v28, v41
	v_cmp_ne_u64_e32 vcc, s[56:57], v[27:28]
                                        ; implicit-def: $vgpr59
	s_and_saveexec_b64 s[20:21], vcc
	s_xor_b64 s[74:75], exec, s[20:21]
	s_cbranch_execz .LBB4_210
; %bb.197:                              ;   in Loop: Header=BB4_108 Depth=3
	v_and_b32_e32 v27, 0x7fffffff, v20
	v_mov_b32_e32 v28, v41
	v_cmp_gt_u64_e32 vcc, s[58:59], v[27:28]
	v_and_b32_sdwa v0, v20, s38 dst_sel:DWORD dst_unused:UNUSED_PAD src0_sel:BYTE_3 src1_sel:DWORD
                                        ; implicit-def: $vgpr59
	s_and_saveexec_b64 s[20:21], vcc
	s_xor_b64 s[76:77], exec, s[20:21]
	s_cbranch_execz .LBB4_207
; %bb.198:                              ;   in Loop: Header=BB4_108 Depth=3
	v_mov_b32_e32 v59, 0
	v_cmp_ne_u32_e32 vcc, 0, v20
	s_and_saveexec_b64 s[78:79], vcc
	s_cbranch_execz .LBB4_206
; %bb.199:                              ;   in Loop: Header=BB4_108 Depth=3
	v_bfe_u32 v17, v20, 23, 8
	v_and_b32_e32 v27, 0x7fffff, v20
	v_cmp_gt_u32_e64 s[20:21], s48, v17
	v_sub_u32_e32 v20, 0x79, v17
	v_cmp_eq_u32_e32 vcc, 0, v17
	v_cndmask_b32_e64 v20, 0, v20, s[20:21]
	v_cndmask_b32_e32 v20, v20, v7, vcc
	v_add_u32_e32 v42, 20, v20
	v_or_b32_e32 v28, 0x800000, v27
	v_lshlrev_b64 v[42:43], v42, -1
	v_cndmask_b32_e32 v27, v28, v27, vcc
	v_mov_b32_e32 v28, v41
	v_add_u32_e32 v56, 19, v20
	v_bfi_b32 v42, v42, 0, v27
	v_lshlrev_b64 v[56:57], v56, 1
	v_lshrrev_b64 v[27:28], v20, v[27:28]
	v_bfi_b32 v43, v43, 0, 0
	v_cmp_eq_u64_e64 s[20:21], v[42:43], v[56:57]
	v_mov_b32_e32 v43, v28
	v_mov_b32_e32 v42, v27
	s_and_saveexec_b64 s[88:89], s[20:21]
; %bb.200:                              ;   in Loop: Header=BB4_108 Depth=3
	v_bfe_u32 v28, v27, 20, 1
	v_add_co_u32_e64 v28, s[20:21], v27, v28
	v_add_co_u32_e64 v42, s[20:21], -1, v28
; %bb.201:                              ;   in Loop: Header=BB4_108 Depth=3
	s_or_b64 exec, exec, s[88:89]
	v_add_u32_e32 v17, 0xffffff81, v17
	v_cndmask_b32_e32 v17, v17, v8, vcc
	v_lshrrev_b32_e32 v28, 23, v27
	v_add3_u32 v43, v20, v17, v28
	v_add_u32_e32 v20, 6, v43
	v_and_b32_e32 v17, 0xfffff, v42
	v_add_u32_e32 v27, v17, v27
	v_mov_b32_e32 v28, v41
	v_cmp_ne_u32_e32 vcc, 0, v20
                                        ; implicit-def: $vgpr17
	s_and_saveexec_b64 s[20:21], vcc
	s_xor_b64 s[20:21], exec, s[20:21]
; %bb.202:                              ;   in Loop: Header=BB4_108 Depth=3
	v_cmp_lt_u64_e32 vcc, s[60:61], v[27:28]
	v_add_u32_e32 v17, 7, v43
	v_cndmask_b32_e32 v17, v20, v17, vcc
	v_cndmask_b32_e64 v20, 0, 1, vcc
	v_lshrrev_b64 v[27:28], v20, v[27:28]
; %bb.203:                              ;   in Loop: Header=BB4_108 Depth=3
	s_andn2_saveexec_b64 s[20:21], s[20:21]
; %bb.204:                              ;   in Loop: Header=BB4_108 Depth=3
	v_bfe_u32 v17, v27, 23, 1
; %bb.205:                              ;   in Loop: Header=BB4_108 Depth=3
	s_or_b64 exec, exec, s[20:21]
	v_lshrrev_b64 v[27:28], 20, v[27:28]
	v_cmp_gt_i32_e32 vcc, 16, v17
	v_cndmask_b32_e32 v28, 0, v28, vcc
	v_cndmask_b32_e32 v27, 7, v27, vcc
	v_cmp_eq_u32_e32 vcc, 0, v17
	v_min_i32_e32 v17, 15, v17
	v_cmp_eq_u64_e64 s[20:21], 0, v[27:28]
	v_lshlrev_b32_e32 v17, 3, v17
	v_and_b32_e32 v17, 0xf8, v17
	v_and_or_b32 v17, v27, 7, v17
	s_and_b64 s[20:21], vcc, s[20:21]
	v_cndmask_b32_e64 v17, v17, 0, s[20:21]
	v_or_b32_e32 v59, v17, v0
.LBB4_206:                              ;   in Loop: Header=BB4_108 Depth=3
	s_or_b64 exec, exec, s[78:79]
                                        ; implicit-def: $vgpr0
.LBB4_207:                              ;   in Loop: Header=BB4_108 Depth=3
	s_andn2_saveexec_b64 s[20:21], s[76:77]
; %bb.208:                              ;   in Loop: Header=BB4_108 Depth=3
	v_or_b32_e32 v59, 0x7e, v0
; %bb.209:                              ;   in Loop: Header=BB4_108 Depth=3
	s_or_b64 exec, exec, s[20:21]
                                        ; implicit-def: $vgpr20
.LBB4_210:                              ;   in Loop: Header=BB4_108 Depth=3
	s_andn2_saveexec_b64 s[20:21], s[74:75]
; %bb.211:                              ;   in Loop: Header=BB4_108 Depth=3
	v_or_b32_sdwa v59, v20, s39 dst_sel:DWORD dst_unused:UNUSED_PAD src0_sel:BYTE_3 src1_sel:DWORD
; %bb.212:                              ;   in Loop: Header=BB4_108 Depth=3
	s_or_b64 exec, exec, s[20:21]
	v_lshrrev_b32_e32 v17, 16, v19
	v_lshrrev_b32_e32 v0, 16, v40
	v_cmp_ne_u16_sdwa s[20:21], v17, v41 src0_sel:BYTE_0 src1_sel:DWORD
                                        ; implicit-def: $vgpr20
	s_and_saveexec_b64 s[74:75], s[14:15]
	s_xor_b64 s[74:75], exec, s[74:75]
	s_cbranch_execz .LBB4_226
; %bb.213:                              ;   in Loop: Header=BB4_108 Depth=3
	v_mov_b32_e32 v27, 0
	v_mov_b32_e32 v20, 0
	s_and_saveexec_b64 s[76:77], s[20:21]
	s_cbranch_execz .LBB4_219
; %bb.214:                              ;   in Loop: Header=BB4_108 Depth=3
	v_cmp_ne_u16_sdwa s[88:89], v17, s38 src0_sel:BYTE_0 src1_sel:DWORD
	v_bfrev_b32_e32 v20, 1
	s_and_saveexec_b64 s[78:79], s[88:89]
	s_cbranch_execz .LBB4_218
; %bb.215:                              ;   in Loop: Header=BB4_108 Depth=3
	v_bfe_u32 v28, v19, 16, 7
	v_cmp_ne_u32_e32 vcc, s39, v28
	v_mov_b32_e32 v20, 0x7f800001
	s_and_saveexec_b64 s[88:89], vcc
	s_cbranch_execz .LBB4_217
; %bb.216:                              ;   in Loop: Header=BB4_108 Depth=3
	v_and_b32_e32 v20, 7, v17
	v_lshrrev_b32_e32 v56, 3, v28
	v_cmp_gt_u32_e32 vcc, 8, v28
	v_ffbh_u32_e32 v28, v20
	v_min_u32_e32 v28, 32, v28
	v_subrev_u32_e32 v42, 28, v28
	v_lshlrev_b64 v[42:43], v42, v[17:18]
	v_sub_u32_e32 v28, 29, v28
	v_and_b32_e32 v42, 7, v42
	v_cndmask_b32_e32 v28, v56, v28, vcc
	v_cndmask_b32_e32 v20, v20, v42, vcc
	v_lshlrev_b32_e32 v17, 24, v17
	v_lshlrev_b32_e32 v20, 20, v20
	v_and_b32_e32 v17, 0x80000000, v17
	v_lshl_add_u32 v28, v28, 23, v26
	v_or3_b32 v20, v17, v28, v20
.LBB4_217:                              ;   in Loop: Header=BB4_108 Depth=3
	s_or_b64 exec, exec, s[88:89]
.LBB4_218:                              ;   in Loop: Header=BB4_108 Depth=3
	s_or_b64 exec, exec, s[78:79]
.LBB4_219:                              ;   in Loop: Header=BB4_108 Depth=3
	s_or_b64 exec, exec, s[76:77]
	v_and_b32_sdwa v17, v40, s37 dst_sel:DWORD dst_unused:UNUSED_PAD src0_sel:WORD_1 src1_sel:DWORD
	v_cmp_ne_u16_e32 vcc, 0, v17
	s_and_saveexec_b64 s[76:77], vcc
	s_cbranch_execz .LBB4_225
; %bb.220:                              ;   in Loop: Header=BB4_108 Depth=3
	v_cmp_ne_u16_e32 vcc, s38, v17
	v_bfrev_b32_e32 v27, 1
	s_and_saveexec_b64 s[78:79], vcc
	s_cbranch_execz .LBB4_224
; %bb.221:                              ;   in Loop: Header=BB4_108 Depth=3
	v_bfe_u32 v17, v40, 16, 7
	v_cmp_ne_u32_e32 vcc, s39, v17
	v_mov_b32_e32 v27, 0x7f800001
	s_and_saveexec_b64 s[88:89], vcc
	s_cbranch_execz .LBB4_223
; %bb.222:                              ;   in Loop: Header=BB4_108 Depth=3
	v_and_b32_e32 v42, 7, v0
	v_lshrrev_b32_e32 v43, 3, v17
	v_cmp_gt_u32_e32 vcc, 8, v17
	v_ffbh_u32_e32 v17, v42
	v_min_u32_e32 v17, 32, v17
	v_subrev_u32_e32 v27, 28, v17
	v_lshlrev_b64 v[27:28], v27, v[0:1]
	v_sub_u32_e32 v0, 29, v17
	v_and_b32_e32 v17, 7, v27
	v_cndmask_b32_e32 v0, v43, v0, vcc
	v_cndmask_b32_e32 v17, v42, v17, vcc
	v_lshlrev_b32_sdwa v27, v54, v40 dst_sel:DWORD dst_unused:UNUSED_PAD src0_sel:DWORD src1_sel:WORD_1
	v_lshlrev_b32_e32 v17, 20, v17
	v_and_b32_e32 v27, 0x80000000, v27
	v_lshl_add_u32 v0, v0, 23, v26
	v_or3_b32 v27, v27, v0, v17
.LBB4_223:                              ;   in Loop: Header=BB4_108 Depth=3
	s_or_b64 exec, exec, s[88:89]
.LBB4_224:                              ;   in Loop: Header=BB4_108 Depth=3
	s_or_b64 exec, exec, s[78:79]
.LBB4_225:                              ;   in Loop: Header=BB4_108 Depth=3
	s_or_b64 exec, exec, s[76:77]
	v_max_f32_e32 v0, v27, v27
	v_max_f32_e32 v17, v20, v20
	;; [unrolled: 1-line block ×3, first 2 shown]
                                        ; implicit-def: $vgpr17
                                        ; implicit-def: $vgpr0
.LBB4_226:                              ;   in Loop: Header=BB4_108 Depth=3
	s_andn2_saveexec_b64 s[74:75], s[74:75]
	s_cbranch_execz .LBB4_240
; %bb.227:                              ;   in Loop: Header=BB4_108 Depth=3
	v_mov_b32_e32 v27, 0
	v_mov_b32_e32 v20, 0
	s_and_saveexec_b64 s[76:77], s[20:21]
	s_cbranch_execz .LBB4_233
; %bb.228:                              ;   in Loop: Header=BB4_108 Depth=3
	v_cmp_ne_u16_sdwa s[78:79], v17, s38 src0_sel:BYTE_0 src1_sel:DWORD
	v_bfrev_b32_e32 v20, 1
	s_and_saveexec_b64 s[20:21], s[78:79]
	s_cbranch_execz .LBB4_232
; %bb.229:                              ;   in Loop: Header=BB4_108 Depth=3
	v_bfe_u32 v28, v19, 16, 7
	v_cmp_ne_u32_e32 vcc, s39, v28
	v_mov_b32_e32 v20, 0x7f800001
	s_and_saveexec_b64 s[78:79], vcc
	s_cbranch_execz .LBB4_231
; %bb.230:                              ;   in Loop: Header=BB4_108 Depth=3
	v_and_b32_e32 v20, 7, v17
	v_lshrrev_b32_e32 v56, 3, v28
	v_cmp_gt_u32_e32 vcc, 8, v28
	v_ffbh_u32_e32 v28, v20
	v_min_u32_e32 v28, 32, v28
	v_subrev_u32_e32 v42, 28, v28
	v_lshlrev_b64 v[42:43], v42, v[17:18]
	v_sub_u32_e32 v28, 29, v28
	v_and_b32_e32 v42, 7, v42
	v_cndmask_b32_e32 v28, v56, v28, vcc
	v_cndmask_b32_e32 v20, v20, v42, vcc
	v_lshlrev_b32_e32 v17, 24, v17
	v_lshlrev_b32_e32 v20, 20, v20
	v_and_b32_e32 v17, 0x80000000, v17
	v_lshl_add_u32 v28, v28, 23, v26
	v_or3_b32 v20, v17, v28, v20
.LBB4_231:                              ;   in Loop: Header=BB4_108 Depth=3
	s_or_b64 exec, exec, s[78:79]
.LBB4_232:                              ;   in Loop: Header=BB4_108 Depth=3
	s_or_b64 exec, exec, s[20:21]
.LBB4_233:                              ;   in Loop: Header=BB4_108 Depth=3
	s_or_b64 exec, exec, s[76:77]
	v_and_b32_sdwa v17, v40, s37 dst_sel:DWORD dst_unused:UNUSED_PAD src0_sel:WORD_1 src1_sel:DWORD
	v_cmp_ne_u16_e32 vcc, 0, v17
	s_and_saveexec_b64 s[20:21], vcc
	s_cbranch_execz .LBB4_239
; %bb.234:                              ;   in Loop: Header=BB4_108 Depth=3
	v_cmp_ne_u16_e32 vcc, s38, v17
	v_bfrev_b32_e32 v27, 1
	s_and_saveexec_b64 s[76:77], vcc
	s_cbranch_execz .LBB4_238
; %bb.235:                              ;   in Loop: Header=BB4_108 Depth=3
	v_bfe_u32 v17, v40, 16, 7
	v_cmp_ne_u32_e32 vcc, s39, v17
	v_mov_b32_e32 v27, 0x7f800001
	s_and_saveexec_b64 s[78:79], vcc
	s_cbranch_execz .LBB4_237
; %bb.236:                              ;   in Loop: Header=BB4_108 Depth=3
	v_and_b32_e32 v42, 7, v0
	v_lshrrev_b32_e32 v43, 3, v17
	v_cmp_gt_u32_e32 vcc, 8, v17
	v_ffbh_u32_e32 v17, v42
	v_min_u32_e32 v17, 32, v17
	v_subrev_u32_e32 v27, 28, v17
	v_lshlrev_b64 v[27:28], v27, v[0:1]
	v_sub_u32_e32 v0, 29, v17
	v_and_b32_e32 v17, 7, v27
	v_cndmask_b32_e32 v0, v43, v0, vcc
	v_cndmask_b32_e32 v17, v42, v17, vcc
	v_lshlrev_b32_sdwa v27, v54, v40 dst_sel:DWORD dst_unused:UNUSED_PAD src0_sel:DWORD src1_sel:WORD_1
	v_lshlrev_b32_e32 v17, 20, v17
	v_and_b32_e32 v27, 0x80000000, v27
	v_lshl_add_u32 v0, v0, 23, v26
	v_or3_b32 v27, v27, v0, v17
.LBB4_237:                              ;   in Loop: Header=BB4_108 Depth=3
	s_or_b64 exec, exec, s[78:79]
.LBB4_238:                              ;   in Loop: Header=BB4_108 Depth=3
	s_or_b64 exec, exec, s[76:77]
.LBB4_239:                              ;   in Loop: Header=BB4_108 Depth=3
	s_or_b64 exec, exec, s[20:21]
	v_max_f32_e32 v0, v27, v27
	v_max_f32_e32 v17, v20, v20
	v_min_f32_e32 v20, v17, v0
.LBB4_240:                              ;   in Loop: Header=BB4_108 Depth=3
	s_or_b64 exec, exec, s[74:75]
	v_and_b32_e32 v27, 0x7f800000, v20
	v_mov_b32_e32 v28, v41
	v_cmp_ne_u64_e32 vcc, s[56:57], v[27:28]
                                        ; implicit-def: $vgpr42
	s_and_saveexec_b64 s[20:21], vcc
	s_xor_b64 s[74:75], exec, s[20:21]
	s_cbranch_execz .LBB4_254
; %bb.241:                              ;   in Loop: Header=BB4_108 Depth=3
	v_and_b32_e32 v27, 0x7fffffff, v20
	v_mov_b32_e32 v28, v41
	v_cmp_gt_u64_e32 vcc, s[58:59], v[27:28]
	v_and_b32_sdwa v0, v20, s38 dst_sel:DWORD dst_unused:UNUSED_PAD src0_sel:BYTE_3 src1_sel:DWORD
                                        ; implicit-def: $vgpr42
	s_and_saveexec_b64 s[20:21], vcc
	s_xor_b64 s[76:77], exec, s[20:21]
	s_cbranch_execz .LBB4_251
; %bb.242:                              ;   in Loop: Header=BB4_108 Depth=3
	v_mov_b32_e32 v42, 0
	v_cmp_ne_u32_e32 vcc, 0, v20
	s_and_saveexec_b64 s[78:79], vcc
	s_cbranch_execz .LBB4_250
; %bb.243:                              ;   in Loop: Header=BB4_108 Depth=3
	v_bfe_u32 v17, v20, 23, 8
	v_and_b32_e32 v27, 0x7fffff, v20
	v_cmp_gt_u32_e64 s[20:21], s48, v17
	v_sub_u32_e32 v20, 0x79, v17
	v_cmp_eq_u32_e32 vcc, 0, v17
	v_cndmask_b32_e64 v20, 0, v20, s[20:21]
	v_cndmask_b32_e32 v20, v20, v7, vcc
	v_add_u32_e32 v42, 20, v20
	v_or_b32_e32 v28, 0x800000, v27
	v_lshlrev_b64 v[42:43], v42, -1
	v_cndmask_b32_e32 v27, v28, v27, vcc
	v_mov_b32_e32 v28, v41
	v_add_u32_e32 v56, 19, v20
	v_bfi_b32 v42, v42, 0, v27
	v_lshlrev_b64 v[56:57], v56, 1
	v_lshrrev_b64 v[27:28], v20, v[27:28]
	v_bfi_b32 v43, v43, 0, 0
	v_cmp_eq_u64_e64 s[20:21], v[42:43], v[56:57]
	v_mov_b32_e32 v43, v28
	v_mov_b32_e32 v42, v27
	s_and_saveexec_b64 s[88:89], s[20:21]
; %bb.244:                              ;   in Loop: Header=BB4_108 Depth=3
	v_bfe_u32 v28, v27, 20, 1
	v_add_co_u32_e64 v28, s[20:21], v27, v28
	v_add_co_u32_e64 v42, s[20:21], -1, v28
; %bb.245:                              ;   in Loop: Header=BB4_108 Depth=3
	s_or_b64 exec, exec, s[88:89]
	v_add_u32_e32 v17, 0xffffff81, v17
	v_cndmask_b32_e32 v17, v17, v8, vcc
	v_lshrrev_b32_e32 v28, 23, v27
	v_add3_u32 v43, v20, v17, v28
	v_add_u32_e32 v20, 6, v43
	v_and_b32_e32 v17, 0xfffff, v42
	v_add_u32_e32 v27, v17, v27
	v_mov_b32_e32 v28, v41
	v_cmp_ne_u32_e32 vcc, 0, v20
                                        ; implicit-def: $vgpr17
	s_and_saveexec_b64 s[20:21], vcc
	s_xor_b64 s[20:21], exec, s[20:21]
; %bb.246:                              ;   in Loop: Header=BB4_108 Depth=3
	v_cmp_lt_u64_e32 vcc, s[60:61], v[27:28]
	v_add_u32_e32 v17, 7, v43
	v_cndmask_b32_e32 v17, v20, v17, vcc
	v_cndmask_b32_e64 v20, 0, 1, vcc
	v_lshrrev_b64 v[27:28], v20, v[27:28]
; %bb.247:                              ;   in Loop: Header=BB4_108 Depth=3
	s_andn2_saveexec_b64 s[20:21], s[20:21]
; %bb.248:                              ;   in Loop: Header=BB4_108 Depth=3
	v_bfe_u32 v17, v27, 23, 1
; %bb.249:                              ;   in Loop: Header=BB4_108 Depth=3
	s_or_b64 exec, exec, s[20:21]
	v_lshrrev_b64 v[27:28], 20, v[27:28]
	v_cmp_gt_i32_e32 vcc, 16, v17
	v_cndmask_b32_e32 v28, 0, v28, vcc
	v_cndmask_b32_e32 v27, 7, v27, vcc
	v_cmp_eq_u32_e32 vcc, 0, v17
	v_min_i32_e32 v17, 15, v17
	v_cmp_eq_u64_e64 s[20:21], 0, v[27:28]
	v_lshlrev_b32_e32 v17, 3, v17
	v_and_b32_e32 v17, 0xf8, v17
	v_and_or_b32 v17, v27, 7, v17
	s_and_b64 s[20:21], vcc, s[20:21]
	v_cndmask_b32_e64 v17, v17, 0, s[20:21]
	v_or_b32_e32 v42, v17, v0
.LBB4_250:                              ;   in Loop: Header=BB4_108 Depth=3
	s_or_b64 exec, exec, s[78:79]
                                        ; implicit-def: $vgpr0
.LBB4_251:                              ;   in Loop: Header=BB4_108 Depth=3
	s_andn2_saveexec_b64 s[20:21], s[76:77]
; %bb.252:                              ;   in Loop: Header=BB4_108 Depth=3
	v_or_b32_e32 v42, 0x7e, v0
; %bb.253:                              ;   in Loop: Header=BB4_108 Depth=3
	s_or_b64 exec, exec, s[20:21]
                                        ; implicit-def: $vgpr20
.LBB4_254:                              ;   in Loop: Header=BB4_108 Depth=3
	s_andn2_saveexec_b64 s[20:21], s[74:75]
; %bb.255:                              ;   in Loop: Header=BB4_108 Depth=3
	v_or_b32_sdwa v42, v20, s39 dst_sel:DWORD dst_unused:UNUSED_PAD src0_sel:BYTE_3 src1_sel:DWORD
; %bb.256:                              ;   in Loop: Header=BB4_108 Depth=3
	s_or_b64 exec, exec, s[20:21]
	v_lshrrev_b32_e32 v17, 24, v19
	v_lshrrev_b32_e32 v0, 24, v40
	v_cmp_lt_u32_e32 vcc, s49, v19
                                        ; implicit-def: $vgpr20
	s_and_saveexec_b64 s[20:21], s[14:15]
	s_xor_b64 s[74:75], exec, s[20:21]
	s_cbranch_execz .LBB4_270
; %bb.257:                              ;   in Loop: Header=BB4_108 Depth=3
	v_mov_b32_e32 v27, 0
	v_mov_b32_e32 v20, 0
	s_and_saveexec_b64 s[76:77], vcc
	s_cbranch_execz .LBB4_263
; %bb.258:                              ;   in Loop: Header=BB4_108 Depth=3
	v_cmp_ne_u32_e64 s[20:21], s38, v17
	v_bfrev_b32_e32 v20, 1
	s_and_saveexec_b64 s[78:79], s[20:21]
	s_cbranch_execz .LBB4_262
; %bb.259:                              ;   in Loop: Header=BB4_108 Depth=3
	v_bfe_u32 v19, v19, 24, 7
	v_cmp_ne_u32_e64 s[20:21], s39, v19
	v_mov_b32_e32 v20, 0x7f800001
	s_and_saveexec_b64 s[88:89], s[20:21]
	s_cbranch_execz .LBB4_261
; %bb.260:                              ;   in Loop: Header=BB4_108 Depth=3
	v_and_b32_e32 v28, 7, v17
	v_lshrrev_b32_e32 v43, 3, v19
	v_cmp_gt_u32_e64 s[20:21], 8, v19
	v_ffbh_u32_e32 v19, v28
	v_min_u32_e32 v56, 32, v19
	v_subrev_u32_e32 v19, 28, v56
	v_lshlrev_b64 v[19:20], v19, v[17:18]
	v_sub_u32_e32 v20, 29, v56
	v_and_b32_e32 v19, 7, v19
	v_cndmask_b32_e64 v20, v43, v20, s[20:21]
	v_cndmask_b32_e64 v19, v28, v19, s[20:21]
	v_lshlrev_b32_e32 v17, 24, v17
	v_lshlrev_b32_e32 v19, 20, v19
	v_and_b32_e32 v17, 0x80000000, v17
	v_lshl_add_u32 v20, v20, 23, v26
	v_or3_b32 v20, v17, v20, v19
.LBB4_261:                              ;   in Loop: Header=BB4_108 Depth=3
	s_or_b64 exec, exec, s[88:89]
.LBB4_262:                              ;   in Loop: Header=BB4_108 Depth=3
	s_or_b64 exec, exec, s[78:79]
.LBB4_263:                              ;   in Loop: Header=BB4_108 Depth=3
	s_or_b64 exec, exec, s[76:77]
	v_cmp_lt_u32_e64 s[20:21], s49, v40
	s_and_saveexec_b64 s[76:77], s[20:21]
	s_cbranch_execz .LBB4_269
; %bb.264:                              ;   in Loop: Header=BB4_108 Depth=3
	v_cmp_ne_u32_sdwa s[20:21], v40, s38 src0_sel:BYTE_3 src1_sel:DWORD
	v_bfrev_b32_e32 v27, 1
	s_and_saveexec_b64 s[78:79], s[20:21]
	s_cbranch_execz .LBB4_268
; %bb.265:                              ;   in Loop: Header=BB4_108 Depth=3
	v_bfe_u32 v17, v40, 24, 7
	v_cmp_ne_u32_e64 s[20:21], s39, v17
	v_mov_b32_e32 v27, 0x7f800001
	s_and_saveexec_b64 s[88:89], s[20:21]
	s_cbranch_execz .LBB4_267
; %bb.266:                              ;   in Loop: Header=BB4_108 Depth=3
	v_and_b32_e32 v19, 7, v0
	v_lshrrev_b32_e32 v43, 3, v17
	v_cmp_gt_u32_e64 s[20:21], 8, v17
	v_ffbh_u32_e32 v17, v19
	v_min_u32_e32 v17, 32, v17
	v_subrev_u32_e32 v27, 28, v17
	v_lshlrev_b64 v[27:28], v27, v[0:1]
	v_sub_u32_e32 v0, 29, v17
	v_and_b32_e32 v17, 7, v27
	v_cndmask_b32_e64 v0, v43, v0, s[20:21]
	v_cndmask_b32_e64 v17, v19, v17, s[20:21]
	v_lshlrev_b32_sdwa v19, v54, v40 dst_sel:DWORD dst_unused:UNUSED_PAD src0_sel:DWORD src1_sel:BYTE_3
	v_lshlrev_b32_e32 v17, 20, v17
	v_and_b32_e32 v19, 0x80000000, v19
	v_lshl_add_u32 v0, v0, 23, v26
	v_or3_b32 v27, v19, v0, v17
.LBB4_267:                              ;   in Loop: Header=BB4_108 Depth=3
	s_or_b64 exec, exec, s[88:89]
.LBB4_268:                              ;   in Loop: Header=BB4_108 Depth=3
	s_or_b64 exec, exec, s[78:79]
.LBB4_269:                              ;   in Loop: Header=BB4_108 Depth=3
	s_or_b64 exec, exec, s[76:77]
	v_max_f32_e32 v0, v27, v27
	v_max_f32_e32 v17, v20, v20
	;; [unrolled: 1-line block ×3, first 2 shown]
                                        ; implicit-def: $vgpr17
                                        ; implicit-def: $vgpr0
.LBB4_270:                              ;   in Loop: Header=BB4_108 Depth=3
	s_andn2_saveexec_b64 s[20:21], s[74:75]
	s_cbranch_execz .LBB4_284
; %bb.271:                              ;   in Loop: Header=BB4_108 Depth=3
	v_mov_b32_e32 v27, 0
	v_mov_b32_e32 v20, 0
	s_and_saveexec_b64 s[74:75], vcc
	s_cbranch_execz .LBB4_277
; %bb.272:                              ;   in Loop: Header=BB4_108 Depth=3
	v_cmp_ne_u32_e32 vcc, s38, v17
	v_bfrev_b32_e32 v20, 1
	s_and_saveexec_b64 s[76:77], vcc
	s_cbranch_execz .LBB4_276
; %bb.273:                              ;   in Loop: Header=BB4_108 Depth=3
	v_bfe_u32 v19, v19, 24, 7
	v_cmp_ne_u32_e32 vcc, s39, v19
	v_mov_b32_e32 v20, 0x7f800001
	s_and_saveexec_b64 s[78:79], vcc
	s_cbranch_execz .LBB4_275
; %bb.274:                              ;   in Loop: Header=BB4_108 Depth=3
	v_and_b32_e32 v28, 7, v17
	v_lshrrev_b32_e32 v43, 3, v19
	v_cmp_gt_u32_e32 vcc, 8, v19
	v_ffbh_u32_e32 v19, v28
	v_min_u32_e32 v56, 32, v19
	v_subrev_u32_e32 v19, 28, v56
	v_lshlrev_b64 v[19:20], v19, v[17:18]
	v_sub_u32_e32 v20, 29, v56
	v_and_b32_e32 v19, 7, v19
	v_cndmask_b32_e32 v20, v43, v20, vcc
	v_cndmask_b32_e32 v19, v28, v19, vcc
	v_lshlrev_b32_e32 v17, 24, v17
	v_lshlrev_b32_e32 v19, 20, v19
	v_and_b32_e32 v17, 0x80000000, v17
	v_lshl_add_u32 v20, v20, 23, v26
	v_or3_b32 v20, v17, v20, v19
.LBB4_275:                              ;   in Loop: Header=BB4_108 Depth=3
	s_or_b64 exec, exec, s[78:79]
.LBB4_276:                              ;   in Loop: Header=BB4_108 Depth=3
	s_or_b64 exec, exec, s[76:77]
.LBB4_277:                              ;   in Loop: Header=BB4_108 Depth=3
	s_or_b64 exec, exec, s[74:75]
	v_cmp_lt_u32_e32 vcc, s49, v40
	s_and_saveexec_b64 s[74:75], vcc
	s_cbranch_execz .LBB4_283
; %bb.278:                              ;   in Loop: Header=BB4_108 Depth=3
	v_cmp_ne_u32_sdwa s[78:79], v40, s38 src0_sel:BYTE_3 src1_sel:DWORD
	v_bfrev_b32_e32 v27, 1
	s_and_saveexec_b64 s[76:77], s[78:79]
	s_cbranch_execz .LBB4_282
; %bb.279:                              ;   in Loop: Header=BB4_108 Depth=3
	v_bfe_u32 v17, v40, 24, 7
	v_cmp_ne_u32_e32 vcc, s39, v17
	v_mov_b32_e32 v27, 0x7f800001
	s_and_saveexec_b64 s[78:79], vcc
	s_cbranch_execz .LBB4_281
; %bb.280:                              ;   in Loop: Header=BB4_108 Depth=3
	v_and_b32_e32 v19, 7, v0
	v_lshrrev_b32_e32 v43, 3, v17
	v_cmp_gt_u32_e32 vcc, 8, v17
	v_ffbh_u32_e32 v17, v19
	v_min_u32_e32 v17, 32, v17
	v_subrev_u32_e32 v27, 28, v17
	v_lshlrev_b64 v[27:28], v27, v[0:1]
	v_sub_u32_e32 v0, 29, v17
	v_and_b32_e32 v17, 7, v27
	v_cndmask_b32_e32 v0, v43, v0, vcc
	v_cndmask_b32_e32 v17, v19, v17, vcc
	v_lshlrev_b32_sdwa v19, v54, v40 dst_sel:DWORD dst_unused:UNUSED_PAD src0_sel:DWORD src1_sel:BYTE_3
	v_lshlrev_b32_e32 v17, 20, v17
	v_and_b32_e32 v19, 0x80000000, v19
	v_lshl_add_u32 v0, v0, 23, v26
	v_or3_b32 v27, v19, v0, v17
.LBB4_281:                              ;   in Loop: Header=BB4_108 Depth=3
	s_or_b64 exec, exec, s[78:79]
.LBB4_282:                              ;   in Loop: Header=BB4_108 Depth=3
	s_or_b64 exec, exec, s[76:77]
.LBB4_283:                              ;   in Loop: Header=BB4_108 Depth=3
	s_or_b64 exec, exec, s[74:75]
	v_max_f32_e32 v0, v27, v27
	v_max_f32_e32 v17, v20, v20
	v_min_f32_e32 v20, v17, v0
.LBB4_284:                              ;   in Loop: Header=BB4_108 Depth=3
	s_or_b64 exec, exec, s[20:21]
	v_and_b32_e32 v40, 0x7f800000, v20
	v_cmp_ne_u64_e32 vcc, s[56:57], v[40:41]
                                        ; implicit-def: $vgpr43
	s_and_saveexec_b64 s[20:21], vcc
	s_xor_b64 s[74:75], exec, s[20:21]
	s_cbranch_execz .LBB4_298
; %bb.285:                              ;   in Loop: Header=BB4_108 Depth=3
	v_and_b32_e32 v40, 0x7fffffff, v20
	v_cmp_gt_u64_e32 vcc, s[58:59], v[40:41]
	v_and_b32_sdwa v0, v20, s38 dst_sel:DWORD dst_unused:UNUSED_PAD src0_sel:BYTE_3 src1_sel:DWORD
                                        ; implicit-def: $vgpr43
	s_and_saveexec_b64 s[20:21], vcc
	s_xor_b64 s[76:77], exec, s[20:21]
	s_cbranch_execz .LBB4_295
; %bb.286:                              ;   in Loop: Header=BB4_108 Depth=3
	v_mov_b32_e32 v43, 0
	v_cmp_ne_u32_e32 vcc, 0, v20
	s_and_saveexec_b64 s[78:79], vcc
	s_cbranch_execz .LBB4_294
; %bb.287:                              ;   in Loop: Header=BB4_108 Depth=3
	v_bfe_u32 v17, v20, 23, 8
	v_and_b32_e32 v19, 0x7fffff, v20
	v_cmp_gt_u32_e64 s[20:21], s48, v17
	v_sub_u32_e32 v20, 0x79, v17
	v_cmp_eq_u32_e32 vcc, 0, v17
	v_cndmask_b32_e64 v20, 0, v20, s[20:21]
	v_or_b32_e32 v27, 0x800000, v19
	v_cndmask_b32_e32 v43, v20, v7, vcc
	v_cndmask_b32_e32 v40, v27, v19, vcc
	v_add_u32_e32 v19, 20, v43
	v_lshlrev_b64 v[19:20], v19, -1
	v_add_u32_e32 v27, 19, v43
	v_lshlrev_b64 v[27:28], v27, 1
	v_bfi_b32 v20, v20, 0, 0
	v_bfi_b32 v19, v19, 0, v40
	v_cmp_eq_u64_e64 s[20:21], v[19:20], v[27:28]
	v_lshrrev_b64 v[19:20], v43, v[40:41]
	v_mov_b32_e32 v28, v20
	v_mov_b32_e32 v27, v19
	s_and_saveexec_b64 s[88:89], s[20:21]
; %bb.288:                              ;   in Loop: Header=BB4_108 Depth=3
	v_bfe_u32 v20, v19, 20, 1
	v_add_co_u32_e64 v20, s[20:21], v19, v20
	v_add_co_u32_e64 v27, s[20:21], -1, v20
; %bb.289:                              ;   in Loop: Header=BB4_108 Depth=3
	s_or_b64 exec, exec, s[88:89]
	v_add_u32_e32 v17, 0xffffff81, v17
	v_cndmask_b32_e32 v17, v17, v8, vcc
	v_lshrrev_b32_e32 v20, 23, v19
	v_add3_u32 v43, v43, v17, v20
	v_add_u32_e32 v28, 6, v43
	v_and_b32_e32 v17, 0xfffff, v27
	v_add_u32_e32 v40, v17, v19
	v_cmp_ne_u32_e32 vcc, 0, v28
                                        ; implicit-def: $vgpr19_vgpr20
                                        ; implicit-def: $vgpr17
	s_and_saveexec_b64 s[20:21], vcc
	s_xor_b64 s[20:21], exec, s[20:21]
; %bb.290:                              ;   in Loop: Header=BB4_108 Depth=3
	v_cmp_lt_u64_e32 vcc, s[60:61], v[40:41]
	v_add_u32_e32 v17, 7, v43
	v_cndmask_b32_e64 v19, 0, 1, vcc
	v_cndmask_b32_e32 v17, v28, v17, vcc
	v_lshrrev_b64 v[19:20], v19, v[40:41]
; %bb.291:                              ;   in Loop: Header=BB4_108 Depth=3
	s_andn2_saveexec_b64 s[20:21], s[20:21]
; %bb.292:                              ;   in Loop: Header=BB4_108 Depth=3
	v_mov_b32_e32 v19, v40
	v_bfe_u32 v17, v40, 23, 1
	v_mov_b32_e32 v20, v41
; %bb.293:                              ;   in Loop: Header=BB4_108 Depth=3
	s_or_b64 exec, exec, s[20:21]
	v_lshrrev_b64 v[19:20], 20, v[19:20]
	v_cmp_gt_i32_e32 vcc, 16, v17
	v_cndmask_b32_e32 v20, 0, v20, vcc
	v_cndmask_b32_e32 v19, 7, v19, vcc
	v_cmp_eq_u32_e32 vcc, 0, v17
	v_min_i32_e32 v17, 15, v17
	v_cmp_eq_u64_e64 s[20:21], 0, v[19:20]
	v_lshlrev_b32_e32 v17, 3, v17
	v_and_b32_e32 v17, 0xf8, v17
	v_and_or_b32 v17, v19, 7, v17
	s_and_b64 s[20:21], vcc, s[20:21]
	v_cndmask_b32_e64 v17, v17, 0, s[20:21]
	v_or_b32_e32 v43, v17, v0
.LBB4_294:                              ;   in Loop: Header=BB4_108 Depth=3
	s_or_b64 exec, exec, s[78:79]
                                        ; implicit-def: $vgpr0
.LBB4_295:                              ;   in Loop: Header=BB4_108 Depth=3
	s_andn2_saveexec_b64 s[20:21], s[76:77]
; %bb.296:                              ;   in Loop: Header=BB4_108 Depth=3
	v_or_b32_e32 v43, 0x7e, v0
; %bb.297:                              ;   in Loop: Header=BB4_108 Depth=3
	s_or_b64 exec, exec, s[20:21]
                                        ; implicit-def: $vgpr20
.LBB4_298:                              ;   in Loop: Header=BB4_108 Depth=3
	s_andn2_saveexec_b64 s[20:21], s[74:75]
; %bb.299:                              ;   in Loop: Header=BB4_108 Depth=3
	v_or_b32_sdwa v43, v20, s39 dst_sel:DWORD dst_unused:UNUSED_PAD src0_sel:BYTE_3 src1_sel:DWORD
; %bb.300:                              ;   in Loop: Header=BB4_108 Depth=3
	s_or_b64 exec, exec, s[20:21]
	v_alignbit_b32 v40, v44, v45, v22
	v_mov_b32_e32 v22, v41
	v_cmp_ne_u16_sdwa s[20:21], v21, v41 src0_sel:BYTE_0 src1_sel:DWORD
                                        ; implicit-def: $vgpr17
	s_and_saveexec_b64 s[74:75], s[14:15]
	s_xor_b64 s[74:75], exec, s[74:75]
	s_cbranch_execz .LBB4_314
; %bb.301:                              ;   in Loop: Header=BB4_108 Depth=3
	v_mov_b32_e32 v17, 0
	v_mov_b32_e32 v0, 0
	s_and_saveexec_b64 s[76:77], s[20:21]
	s_cbranch_execz .LBB4_307
; %bb.302:                              ;   in Loop: Header=BB4_108 Depth=3
	v_cmp_ne_u16_sdwa s[88:89], v21, s38 src0_sel:BYTE_0 src1_sel:DWORD
	v_bfrev_b32_e32 v0, 1
	s_and_saveexec_b64 s[78:79], s[88:89]
	s_cbranch_execz .LBB4_306
; %bb.303:                              ;   in Loop: Header=BB4_108 Depth=3
	v_and_b32_e32 v19, 0x7f, v21
	v_cmp_ne_u32_e32 vcc, s39, v19
	v_mov_b32_e32 v0, 0x7f800001
	s_and_saveexec_b64 s[88:89], vcc
	s_cbranch_execz .LBB4_305
; %bb.304:                              ;   in Loop: Header=BB4_108 Depth=3
	v_and_b32_e32 v0, 7, v21
	v_ffbh_u32_e32 v0, v0
	v_min_u32_e32 v0, 32, v0
	v_lshrrev_b32_e32 v20, 3, v19
	v_cmp_gt_u32_e32 vcc, 8, v19
	v_subrev_u32_e32 v19, 28, v0
	v_sub_u32_e32 v0, 29, v0
	v_cndmask_b32_e32 v19, 0, v19, vcc
	v_cndmask_b32_e32 v0, v20, v0, vcc
	v_lshlrev_b64 v[19:20], v19, v[21:22]
	v_lshlrev_b32_e32 v20, 24, v21
	v_lshlrev_b32_e32 v19, 20, v19
	v_and_b32_e32 v19, 0x700000, v19
	v_and_b32_e32 v20, 0x80000000, v20
	v_lshl_add_u32 v0, v0, 23, v26
	v_or3_b32 v0, v20, v0, v19
.LBB4_305:                              ;   in Loop: Header=BB4_108 Depth=3
	s_or_b64 exec, exec, s[88:89]
.LBB4_306:                              ;   in Loop: Header=BB4_108 Depth=3
	s_or_b64 exec, exec, s[78:79]
.LBB4_307:                              ;   in Loop: Header=BB4_108 Depth=3
	s_or_b64 exec, exec, s[76:77]
	v_cmp_ne_u16_sdwa s[78:79], v40, v41 src0_sel:BYTE_0 src1_sel:DWORD
	s_and_saveexec_b64 s[76:77], s[78:79]
	s_cbranch_execz .LBB4_313
; %bb.308:                              ;   in Loop: Header=BB4_108 Depth=3
	v_cmp_ne_u16_sdwa s[88:89], v40, s38 src0_sel:BYTE_0 src1_sel:DWORD
	v_bfrev_b32_e32 v17, 1
	s_and_saveexec_b64 s[78:79], s[88:89]
	s_cbranch_execz .LBB4_312
; %bb.309:                              ;   in Loop: Header=BB4_108 Depth=3
	v_and_b32_e32 v19, 0x7f, v40
	v_cmp_ne_u32_e32 vcc, s39, v19
	v_mov_b32_e32 v17, 0x7f800001
	s_and_saveexec_b64 s[88:89], vcc
	s_cbranch_execz .LBB4_311
; %bb.310:                              ;   in Loop: Header=BB4_108 Depth=3
	v_and_b32_e32 v17, 7, v40
	v_ffbh_u32_e32 v17, v17
	v_min_u32_e32 v17, 32, v17
	v_lshrrev_b32_e32 v20, 3, v19
	v_cmp_gt_u32_e32 vcc, 8, v19
	v_subrev_u32_e32 v19, 28, v17
	v_sub_u32_e32 v17, 29, v17
	v_cndmask_b32_e32 v19, 0, v19, vcc
	v_cndmask_b32_e32 v17, v20, v17, vcc
	v_lshlrev_b64 v[19:20], v19, v[40:41]
	v_lshlrev_b32_e32 v20, 24, v40
	v_lshlrev_b32_e32 v19, 20, v19
	v_and_b32_e32 v19, 0x700000, v19
	v_and_b32_e32 v20, 0x80000000, v20
	v_lshl_add_u32 v17, v17, 23, v26
	v_or3_b32 v17, v20, v17, v19
.LBB4_311:                              ;   in Loop: Header=BB4_108 Depth=3
	s_or_b64 exec, exec, s[88:89]
.LBB4_312:                              ;   in Loop: Header=BB4_108 Depth=3
	s_or_b64 exec, exec, s[78:79]
.LBB4_313:                              ;   in Loop: Header=BB4_108 Depth=3
	s_or_b64 exec, exec, s[76:77]
	v_max_f32_e32 v17, v17, v17
	v_max_f32_e32 v0, v0, v0
	;; [unrolled: 1-line block ×3, first 2 shown]
.LBB4_314:                              ;   in Loop: Header=BB4_108 Depth=3
	s_andn2_saveexec_b64 s[74:75], s[74:75]
	s_cbranch_execz .LBB4_328
; %bb.315:                              ;   in Loop: Header=BB4_108 Depth=3
	v_mov_b32_e32 v17, 0
	v_mov_b32_e32 v0, 0
	s_and_saveexec_b64 s[76:77], s[20:21]
	s_cbranch_execz .LBB4_321
; %bb.316:                              ;   in Loop: Header=BB4_108 Depth=3
	v_cmp_ne_u16_sdwa s[78:79], v21, s38 src0_sel:BYTE_0 src1_sel:DWORD
	v_bfrev_b32_e32 v0, 1
	s_and_saveexec_b64 s[20:21], s[78:79]
	s_cbranch_execz .LBB4_320
; %bb.317:                              ;   in Loop: Header=BB4_108 Depth=3
	v_and_b32_e32 v19, 0x7f, v21
	v_cmp_ne_u32_e32 vcc, s39, v19
	v_mov_b32_e32 v0, 0x7f800001
	s_and_saveexec_b64 s[78:79], vcc
	s_cbranch_execz .LBB4_319
; %bb.318:                              ;   in Loop: Header=BB4_108 Depth=3
	v_and_b32_e32 v0, 7, v21
	v_ffbh_u32_e32 v0, v0
	v_min_u32_e32 v0, 32, v0
	v_lshrrev_b32_e32 v20, 3, v19
	v_cmp_gt_u32_e32 vcc, 8, v19
	v_subrev_u32_e32 v19, 28, v0
	v_sub_u32_e32 v0, 29, v0
	v_cndmask_b32_e32 v19, 0, v19, vcc
	v_cndmask_b32_e32 v0, v20, v0, vcc
	v_lshlrev_b64 v[19:20], v19, v[21:22]
	v_lshlrev_b32_e32 v20, 24, v21
	v_lshlrev_b32_e32 v19, 20, v19
	v_and_b32_e32 v19, 0x700000, v19
	v_and_b32_e32 v20, 0x80000000, v20
	v_lshl_add_u32 v0, v0, 23, v26
	v_or3_b32 v0, v20, v0, v19
.LBB4_319:                              ;   in Loop: Header=BB4_108 Depth=3
	s_or_b64 exec, exec, s[78:79]
.LBB4_320:                              ;   in Loop: Header=BB4_108 Depth=3
	s_or_b64 exec, exec, s[20:21]
.LBB4_321:                              ;   in Loop: Header=BB4_108 Depth=3
	s_or_b64 exec, exec, s[76:77]
	v_cmp_ne_u16_sdwa s[76:77], v40, v41 src0_sel:BYTE_0 src1_sel:DWORD
	s_and_saveexec_b64 s[20:21], s[76:77]
	s_cbranch_execz .LBB4_327
; %bb.322:                              ;   in Loop: Header=BB4_108 Depth=3
	v_cmp_ne_u16_sdwa s[78:79], v40, s38 src0_sel:BYTE_0 src1_sel:DWORD
	v_bfrev_b32_e32 v17, 1
	s_and_saveexec_b64 s[76:77], s[78:79]
	s_cbranch_execz .LBB4_326
; %bb.323:                              ;   in Loop: Header=BB4_108 Depth=3
	v_and_b32_e32 v19, 0x7f, v40
	v_cmp_ne_u32_e32 vcc, s39, v19
	v_mov_b32_e32 v17, 0x7f800001
	s_and_saveexec_b64 s[78:79], vcc
	s_cbranch_execz .LBB4_325
; %bb.324:                              ;   in Loop: Header=BB4_108 Depth=3
	v_and_b32_e32 v17, 7, v40
	v_ffbh_u32_e32 v17, v17
	v_min_u32_e32 v17, 32, v17
	v_lshrrev_b32_e32 v20, 3, v19
	v_cmp_gt_u32_e32 vcc, 8, v19
	v_subrev_u32_e32 v19, 28, v17
	v_sub_u32_e32 v17, 29, v17
	v_cndmask_b32_e32 v19, 0, v19, vcc
	v_cndmask_b32_e32 v17, v20, v17, vcc
	v_lshlrev_b64 v[19:20], v19, v[40:41]
	v_lshlrev_b32_e32 v20, 24, v40
	v_lshlrev_b32_e32 v19, 20, v19
	v_and_b32_e32 v19, 0x700000, v19
	v_and_b32_e32 v20, 0x80000000, v20
	v_lshl_add_u32 v17, v17, 23, v26
	v_or3_b32 v17, v20, v17, v19
.LBB4_325:                              ;   in Loop: Header=BB4_108 Depth=3
	s_or_b64 exec, exec, s[78:79]
.LBB4_326:                              ;   in Loop: Header=BB4_108 Depth=3
	s_or_b64 exec, exec, s[76:77]
.LBB4_327:                              ;   in Loop: Header=BB4_108 Depth=3
	s_or_b64 exec, exec, s[20:21]
	v_max_f32_e32 v17, v17, v17
	v_max_f32_e32 v0, v0, v0
	v_min_f32_e32 v17, v0, v17
.LBB4_328:                              ;   in Loop: Header=BB4_108 Depth=3
	s_or_b64 exec, exec, s[74:75]
	v_and_b32_e32 v19, 0x7f800000, v17
	v_mov_b32_e32 v20, v41
	v_cmp_ne_u64_e32 vcc, s[56:57], v[19:20]
                                        ; implicit-def: $vgpr44
	s_and_saveexec_b64 s[20:21], vcc
	s_xor_b64 s[74:75], exec, s[20:21]
	s_cbranch_execz .LBB4_342
; %bb.329:                              ;   in Loop: Header=BB4_108 Depth=3
	v_and_b32_e32 v19, 0x7fffffff, v17
	v_mov_b32_e32 v20, v41
	v_cmp_gt_u64_e32 vcc, s[58:59], v[19:20]
	v_and_b32_sdwa v0, v17, s38 dst_sel:DWORD dst_unused:UNUSED_PAD src0_sel:BYTE_3 src1_sel:DWORD
                                        ; implicit-def: $vgpr44
	s_and_saveexec_b64 s[20:21], vcc
	s_xor_b64 s[76:77], exec, s[20:21]
	s_cbranch_execz .LBB4_339
; %bb.330:                              ;   in Loop: Header=BB4_108 Depth=3
	v_mov_b32_e32 v44, 0
	v_cmp_ne_u32_e32 vcc, 0, v17
	s_and_saveexec_b64 s[78:79], vcc
	s_cbranch_execz .LBB4_338
; %bb.331:                              ;   in Loop: Header=BB4_108 Depth=3
	v_and_b32_e32 v19, 0x7fffff, v17
	v_bfe_u32 v17, v17, 23, 8
	v_cmp_gt_u32_e64 s[20:21], s48, v17
	v_sub_u32_e32 v20, 0x79, v17
	v_cmp_eq_u32_e32 vcc, 0, v17
	v_cndmask_b32_e64 v20, 0, v20, s[20:21]
	v_or_b32_e32 v27, 0x800000, v19
	v_cndmask_b32_e32 v22, v20, v7, vcc
	v_cndmask_b32_e32 v19, v27, v19, vcc
	v_add_u32_e32 v27, 20, v22
	v_lshlrev_b64 v[27:28], v27, -1
	v_mov_b32_e32 v20, v41
	v_add_u32_e32 v44, 19, v22
	v_bfi_b32 v27, v27, 0, v19
	v_lshlrev_b64 v[44:45], v44, 1
	v_lshrrev_b64 v[19:20], v22, v[19:20]
	v_bfi_b32 v28, v28, 0, 0
	v_cmp_eq_u64_e64 s[20:21], v[27:28], v[44:45]
	v_mov_b32_e32 v28, v20
	v_mov_b32_e32 v27, v19
	s_and_saveexec_b64 s[88:89], s[20:21]
; %bb.332:                              ;   in Loop: Header=BB4_108 Depth=3
	v_bfe_u32 v20, v19, 20, 1
	v_add_co_u32_e64 v20, s[20:21], v19, v20
	v_add_co_u32_e64 v27, s[20:21], -1, v20
; %bb.333:                              ;   in Loop: Header=BB4_108 Depth=3
	s_or_b64 exec, exec, s[88:89]
	v_add_u32_e32 v17, 0xffffff81, v17
	v_cndmask_b32_e32 v17, v17, v8, vcc
	v_lshrrev_b32_e32 v20, 23, v19
	v_add3_u32 v28, v22, v17, v20
	v_add_u32_e32 v22, 6, v28
	v_and_b32_e32 v17, 0xfffff, v27
	v_add_u32_e32 v19, v17, v19
	v_mov_b32_e32 v20, v41
	v_cmp_ne_u32_e32 vcc, 0, v22
                                        ; implicit-def: $vgpr17
	s_and_saveexec_b64 s[20:21], vcc
	s_xor_b64 s[20:21], exec, s[20:21]
; %bb.334:                              ;   in Loop: Header=BB4_108 Depth=3
	v_cmp_lt_u64_e32 vcc, s[60:61], v[19:20]
	v_add_u32_e32 v17, 7, v28
	v_cndmask_b32_e32 v17, v22, v17, vcc
	v_cndmask_b32_e64 v22, 0, 1, vcc
	v_lshrrev_b64 v[19:20], v22, v[19:20]
; %bb.335:                              ;   in Loop: Header=BB4_108 Depth=3
	s_andn2_saveexec_b64 s[20:21], s[20:21]
; %bb.336:                              ;   in Loop: Header=BB4_108 Depth=3
	v_bfe_u32 v17, v19, 23, 1
; %bb.337:                              ;   in Loop: Header=BB4_108 Depth=3
	s_or_b64 exec, exec, s[20:21]
	v_lshrrev_b64 v[19:20], 20, v[19:20]
	v_cmp_gt_i32_e32 vcc, 16, v17
	v_cndmask_b32_e32 v20, 0, v20, vcc
	v_cndmask_b32_e32 v19, 7, v19, vcc
	v_cmp_eq_u32_e32 vcc, 0, v17
	v_min_i32_e32 v17, 15, v17
	v_cmp_eq_u64_e64 s[20:21], 0, v[19:20]
	v_lshlrev_b32_e32 v17, 3, v17
	v_and_b32_e32 v17, 0xf8, v17
	v_and_or_b32 v17, v19, 7, v17
	s_and_b64 s[20:21], vcc, s[20:21]
	v_cndmask_b32_e64 v17, v17, 0, s[20:21]
	v_or_b32_e32 v44, v17, v0
.LBB4_338:                              ;   in Loop: Header=BB4_108 Depth=3
	s_or_b64 exec, exec, s[78:79]
                                        ; implicit-def: $vgpr0
.LBB4_339:                              ;   in Loop: Header=BB4_108 Depth=3
	s_andn2_saveexec_b64 s[20:21], s[76:77]
; %bb.340:                              ;   in Loop: Header=BB4_108 Depth=3
	v_or_b32_e32 v44, 0x7e, v0
; %bb.341:                              ;   in Loop: Header=BB4_108 Depth=3
	s_or_b64 exec, exec, s[20:21]
                                        ; implicit-def: $vgpr17
.LBB4_342:                              ;   in Loop: Header=BB4_108 Depth=3
	s_andn2_saveexec_b64 s[20:21], s[74:75]
; %bb.343:                              ;   in Loop: Header=BB4_108 Depth=3
	v_or_b32_sdwa v44, v17, s39 dst_sel:DWORD dst_unused:UNUSED_PAD src0_sel:BYTE_3 src1_sel:DWORD
; %bb.344:                              ;   in Loop: Header=BB4_108 Depth=3
	s_or_b64 exec, exec, s[20:21]
	v_lshrrev_b16_e32 v17, 8, v21
	v_lshrrev_b16_e32 v0, 8, v40
	v_cmp_ne_u16_e32 vcc, 0, v17
                                        ; implicit-def: $vgpr19
	s_and_saveexec_b64 s[20:21], s[14:15]
	s_xor_b64 s[74:75], exec, s[20:21]
	s_cbranch_execz .LBB4_358
; %bb.345:                              ;   in Loop: Header=BB4_108 Depth=3
	v_mov_b32_e32 v20, 0
	v_mov_b32_e32 v19, 0
	s_and_saveexec_b64 s[76:77], vcc
	s_cbranch_execz .LBB4_351
; %bb.346:                              ;   in Loop: Header=BB4_108 Depth=3
	v_cmp_ne_u16_e64 s[20:21], s38, v17
	v_bfrev_b32_e32 v19, 1
	s_and_saveexec_b64 s[78:79], s[20:21]
	s_cbranch_execz .LBB4_350
; %bb.347:                              ;   in Loop: Header=BB4_108 Depth=3
	v_and_b32_e32 v22, 0x7f, v17
	v_cmp_ne_u32_e64 s[20:21], s39, v22
	v_mov_b32_e32 v19, 0x7f800001
	s_and_saveexec_b64 s[88:89], s[20:21]
	s_cbranch_execz .LBB4_349
; %bb.348:                              ;   in Loop: Header=BB4_108 Depth=3
	v_and_b32_e32 v19, 7, v17
	v_lshrrev_b32_e32 v45, 3, v22
	v_cmp_gt_u32_e64 s[20:21], 8, v22
	v_ffbh_u32_e32 v22, v19
	v_min_u32_e32 v22, 32, v22
	v_subrev_u32_e32 v27, 28, v22
	v_lshlrev_b64 v[27:28], v27, v[17:18]
	v_sub_u32_e32 v17, 29, v22
	v_and_b32_e32 v22, 7, v27
	v_cndmask_b32_e64 v17, v45, v17, s[20:21]
	v_cndmask_b32_e64 v19, v19, v22, s[20:21]
	v_lshlrev_b32_e32 v22, 16, v21
	v_lshlrev_b32_e32 v19, 20, v19
	v_and_b32_e32 v22, 0x80000000, v22
	v_lshl_add_u32 v17, v17, 23, v26
	v_or3_b32 v19, v22, v17, v19
.LBB4_349:                              ;   in Loop: Header=BB4_108 Depth=3
	s_or_b64 exec, exec, s[88:89]
.LBB4_350:                              ;   in Loop: Header=BB4_108 Depth=3
	s_or_b64 exec, exec, s[78:79]
.LBB4_351:                              ;   in Loop: Header=BB4_108 Depth=3
	s_or_b64 exec, exec, s[76:77]
	v_cmp_ne_u16_e64 s[20:21], 0, v0
	s_and_saveexec_b64 s[76:77], s[20:21]
	s_cbranch_execz .LBB4_357
; %bb.352:                              ;   in Loop: Header=BB4_108 Depth=3
	v_cmp_ne_u16_e64 s[20:21], s38, v0
	v_bfrev_b32_e32 v20, 1
	s_and_saveexec_b64 s[78:79], s[20:21]
	s_cbranch_execz .LBB4_356
; %bb.353:                              ;   in Loop: Header=BB4_108 Depth=3
	v_and_b32_e32 v17, 0x7f, v0
	v_cmp_ne_u32_e64 s[20:21], s39, v17
	v_mov_b32_e32 v20, 0x7f800001
	s_and_saveexec_b64 s[88:89], s[20:21]
	s_cbranch_execz .LBB4_355
; %bb.354:                              ;   in Loop: Header=BB4_108 Depth=3
	v_and_b32_e32 v20, 7, v0
	v_lshrrev_b32_e32 v22, 3, v17
	v_cmp_gt_u32_e64 s[20:21], 8, v17
	v_ffbh_u32_e32 v17, v20
	v_min_u32_e32 v17, 32, v17
	v_subrev_u32_e32 v27, 28, v17
	v_lshlrev_b64 v[27:28], v27, v[0:1]
	v_sub_u32_e32 v0, 29, v17
	v_and_b32_e32 v17, 7, v27
	v_cndmask_b32_e64 v0, v22, v0, s[20:21]
	v_cndmask_b32_e64 v17, v20, v17, s[20:21]
	v_lshlrev_b32_e32 v20, 16, v40
	v_lshlrev_b32_e32 v17, 20, v17
	v_and_b32_e32 v20, 0x80000000, v20
	v_lshl_add_u32 v0, v0, 23, v26
	v_or3_b32 v20, v20, v0, v17
.LBB4_355:                              ;   in Loop: Header=BB4_108 Depth=3
	s_or_b64 exec, exec, s[88:89]
.LBB4_356:                              ;   in Loop: Header=BB4_108 Depth=3
	s_or_b64 exec, exec, s[78:79]
.LBB4_357:                              ;   in Loop: Header=BB4_108 Depth=3
	s_or_b64 exec, exec, s[76:77]
	v_max_f32_e32 v0, v20, v20
	v_max_f32_e32 v17, v19, v19
	;; [unrolled: 1-line block ×3, first 2 shown]
                                        ; implicit-def: $vgpr0
                                        ; implicit-def: $vgpr17
.LBB4_358:                              ;   in Loop: Header=BB4_108 Depth=3
	s_andn2_saveexec_b64 s[20:21], s[74:75]
	s_cbranch_execz .LBB4_372
; %bb.359:                              ;   in Loop: Header=BB4_108 Depth=3
	v_mov_b32_e32 v20, 0
	v_mov_b32_e32 v19, 0
	s_and_saveexec_b64 s[74:75], vcc
	s_cbranch_execz .LBB4_365
; %bb.360:                              ;   in Loop: Header=BB4_108 Depth=3
	v_cmp_ne_u16_e32 vcc, s38, v17
	v_bfrev_b32_e32 v19, 1
	s_and_saveexec_b64 s[76:77], vcc
	s_cbranch_execz .LBB4_364
; %bb.361:                              ;   in Loop: Header=BB4_108 Depth=3
	v_and_b32_e32 v22, 0x7f, v17
	v_cmp_ne_u32_e32 vcc, s39, v22
	v_mov_b32_e32 v19, 0x7f800001
	s_and_saveexec_b64 s[78:79], vcc
	s_cbranch_execz .LBB4_363
; %bb.362:                              ;   in Loop: Header=BB4_108 Depth=3
	v_and_b32_e32 v19, 7, v17
	v_lshrrev_b32_e32 v45, 3, v22
	v_cmp_gt_u32_e32 vcc, 8, v22
	v_ffbh_u32_e32 v22, v19
	v_min_u32_e32 v22, 32, v22
	v_subrev_u32_e32 v27, 28, v22
	v_lshlrev_b64 v[27:28], v27, v[17:18]
	v_sub_u32_e32 v17, 29, v22
	v_and_b32_e32 v22, 7, v27
	v_cndmask_b32_e32 v17, v45, v17, vcc
	v_cndmask_b32_e32 v19, v19, v22, vcc
	v_lshlrev_b32_e32 v22, 16, v21
	v_lshlrev_b32_e32 v19, 20, v19
	v_and_b32_e32 v22, 0x80000000, v22
	v_lshl_add_u32 v17, v17, 23, v26
	v_or3_b32 v19, v22, v17, v19
.LBB4_363:                              ;   in Loop: Header=BB4_108 Depth=3
	s_or_b64 exec, exec, s[78:79]
.LBB4_364:                              ;   in Loop: Header=BB4_108 Depth=3
	s_or_b64 exec, exec, s[76:77]
.LBB4_365:                              ;   in Loop: Header=BB4_108 Depth=3
	s_or_b64 exec, exec, s[74:75]
	v_cmp_ne_u16_e32 vcc, 0, v0
	s_and_saveexec_b64 s[74:75], vcc
	s_cbranch_execz .LBB4_371
; %bb.366:                              ;   in Loop: Header=BB4_108 Depth=3
	v_cmp_ne_u16_e32 vcc, s38, v0
	v_bfrev_b32_e32 v20, 1
	s_and_saveexec_b64 s[76:77], vcc
	s_cbranch_execz .LBB4_370
; %bb.367:                              ;   in Loop: Header=BB4_108 Depth=3
	v_and_b32_e32 v17, 0x7f, v0
	v_cmp_ne_u32_e32 vcc, s39, v17
	v_mov_b32_e32 v20, 0x7f800001
	s_and_saveexec_b64 s[78:79], vcc
	s_cbranch_execz .LBB4_369
; %bb.368:                              ;   in Loop: Header=BB4_108 Depth=3
	v_and_b32_e32 v20, 7, v0
	v_lshrrev_b32_e32 v22, 3, v17
	v_cmp_gt_u32_e32 vcc, 8, v17
	v_ffbh_u32_e32 v17, v20
	v_min_u32_e32 v17, 32, v17
	v_subrev_u32_e32 v27, 28, v17
	v_lshlrev_b64 v[27:28], v27, v[0:1]
	v_sub_u32_e32 v0, 29, v17
	v_and_b32_e32 v17, 7, v27
	v_cndmask_b32_e32 v0, v22, v0, vcc
	v_cndmask_b32_e32 v17, v20, v17, vcc
	v_lshlrev_b32_e32 v20, 16, v40
	v_lshlrev_b32_e32 v17, 20, v17
	v_and_b32_e32 v20, 0x80000000, v20
	v_lshl_add_u32 v0, v0, 23, v26
	v_or3_b32 v20, v20, v0, v17
.LBB4_369:                              ;   in Loop: Header=BB4_108 Depth=3
	s_or_b64 exec, exec, s[78:79]
.LBB4_370:                              ;   in Loop: Header=BB4_108 Depth=3
	s_or_b64 exec, exec, s[76:77]
.LBB4_371:                              ;   in Loop: Header=BB4_108 Depth=3
	s_or_b64 exec, exec, s[74:75]
	v_max_f32_e32 v0, v20, v20
	v_max_f32_e32 v17, v19, v19
	v_min_f32_e32 v19, v17, v0
.LBB4_372:                              ;   in Loop: Header=BB4_108 Depth=3
	s_or_b64 exec, exec, s[20:21]
	v_and_b32_e32 v27, 0x7f800000, v19
	v_mov_b32_e32 v28, v41
	v_cmp_ne_u64_e32 vcc, s[56:57], v[27:28]
                                        ; implicit-def: $vgpr45
	s_and_saveexec_b64 s[20:21], vcc
	s_xor_b64 s[74:75], exec, s[20:21]
	s_cbranch_execz .LBB4_386
; %bb.373:                              ;   in Loop: Header=BB4_108 Depth=3
	v_and_b32_e32 v27, 0x7fffffff, v19
	v_mov_b32_e32 v28, v41
	v_cmp_gt_u64_e32 vcc, s[58:59], v[27:28]
	v_and_b32_sdwa v0, v19, s38 dst_sel:DWORD dst_unused:UNUSED_PAD src0_sel:BYTE_3 src1_sel:DWORD
                                        ; implicit-def: $vgpr45
	s_and_saveexec_b64 s[20:21], vcc
	s_xor_b64 s[76:77], exec, s[20:21]
	s_cbranch_execz .LBB4_383
; %bb.374:                              ;   in Loop: Header=BB4_108 Depth=3
	v_mov_b32_e32 v45, 0
	v_cmp_ne_u32_e32 vcc, 0, v19
	s_and_saveexec_b64 s[78:79], vcc
	s_cbranch_execz .LBB4_382
; %bb.375:                              ;   in Loop: Header=BB4_108 Depth=3
	v_bfe_u32 v17, v19, 23, 8
	v_and_b32_e32 v20, 0x7fffff, v19
	v_cmp_gt_u32_e64 s[20:21], s48, v17
	v_sub_u32_e32 v19, 0x79, v17
	v_cmp_eq_u32_e32 vcc, 0, v17
	v_cndmask_b32_e64 v19, 0, v19, s[20:21]
	v_or_b32_e32 v27, 0x800000, v20
	v_cndmask_b32_e32 v22, v19, v7, vcc
	v_cndmask_b32_e32 v19, v27, v20, vcc
	v_add_u32_e32 v27, 20, v22
	v_lshlrev_b64 v[27:28], v27, -1
	v_mov_b32_e32 v20, v41
	v_add_u32_e32 v45, 19, v22
	v_bfi_b32 v27, v27, 0, v19
	v_lshlrev_b64 v[56:57], v45, 1
	v_lshrrev_b64 v[19:20], v22, v[19:20]
	v_bfi_b32 v28, v28, 0, 0
	v_cmp_eq_u64_e64 s[20:21], v[27:28], v[56:57]
	v_mov_b32_e32 v28, v20
	v_mov_b32_e32 v27, v19
	s_and_saveexec_b64 s[88:89], s[20:21]
; %bb.376:                              ;   in Loop: Header=BB4_108 Depth=3
	v_bfe_u32 v20, v19, 20, 1
	v_add_co_u32_e64 v20, s[20:21], v19, v20
	v_add_co_u32_e64 v27, s[20:21], -1, v20
; %bb.377:                              ;   in Loop: Header=BB4_108 Depth=3
	s_or_b64 exec, exec, s[88:89]
	v_add_u32_e32 v17, 0xffffff81, v17
	v_cndmask_b32_e32 v17, v17, v8, vcc
	v_lshrrev_b32_e32 v20, 23, v19
	v_add3_u32 v28, v22, v17, v20
	v_add_u32_e32 v22, 6, v28
	v_and_b32_e32 v17, 0xfffff, v27
	v_add_u32_e32 v19, v17, v19
	v_mov_b32_e32 v20, v41
	v_cmp_ne_u32_e32 vcc, 0, v22
                                        ; implicit-def: $vgpr17
	s_and_saveexec_b64 s[20:21], vcc
	s_xor_b64 s[20:21], exec, s[20:21]
; %bb.378:                              ;   in Loop: Header=BB4_108 Depth=3
	v_cmp_lt_u64_e32 vcc, s[60:61], v[19:20]
	v_add_u32_e32 v17, 7, v28
	v_cndmask_b32_e32 v17, v22, v17, vcc
	v_cndmask_b32_e64 v22, 0, 1, vcc
	v_lshrrev_b64 v[19:20], v22, v[19:20]
; %bb.379:                              ;   in Loop: Header=BB4_108 Depth=3
	s_andn2_saveexec_b64 s[20:21], s[20:21]
; %bb.380:                              ;   in Loop: Header=BB4_108 Depth=3
	v_bfe_u32 v17, v19, 23, 1
; %bb.381:                              ;   in Loop: Header=BB4_108 Depth=3
	s_or_b64 exec, exec, s[20:21]
	v_lshrrev_b64 v[19:20], 20, v[19:20]
	v_cmp_gt_i32_e32 vcc, 16, v17
	v_cndmask_b32_e32 v20, 0, v20, vcc
	v_cndmask_b32_e32 v19, 7, v19, vcc
	v_cmp_eq_u32_e32 vcc, 0, v17
	v_min_i32_e32 v17, 15, v17
	v_cmp_eq_u64_e64 s[20:21], 0, v[19:20]
	v_lshlrev_b32_e32 v17, 3, v17
	v_and_b32_e32 v17, 0xf8, v17
	v_and_or_b32 v17, v19, 7, v17
	s_and_b64 s[20:21], vcc, s[20:21]
	v_cndmask_b32_e64 v17, v17, 0, s[20:21]
	v_or_b32_e32 v45, v17, v0
.LBB4_382:                              ;   in Loop: Header=BB4_108 Depth=3
	s_or_b64 exec, exec, s[78:79]
                                        ; implicit-def: $vgpr0
.LBB4_383:                              ;   in Loop: Header=BB4_108 Depth=3
	s_andn2_saveexec_b64 s[20:21], s[76:77]
; %bb.384:                              ;   in Loop: Header=BB4_108 Depth=3
	v_or_b32_e32 v45, 0x7e, v0
; %bb.385:                              ;   in Loop: Header=BB4_108 Depth=3
	s_or_b64 exec, exec, s[20:21]
                                        ; implicit-def: $vgpr19
.LBB4_386:                              ;   in Loop: Header=BB4_108 Depth=3
	s_andn2_saveexec_b64 s[20:21], s[74:75]
; %bb.387:                              ;   in Loop: Header=BB4_108 Depth=3
	v_or_b32_sdwa v45, v19, s39 dst_sel:DWORD dst_unused:UNUSED_PAD src0_sel:BYTE_3 src1_sel:DWORD
; %bb.388:                              ;   in Loop: Header=BB4_108 Depth=3
	s_or_b64 exec, exec, s[20:21]
	v_lshrrev_b32_e32 v17, 16, v21
	v_lshrrev_b32_e32 v0, 16, v40
	v_cmp_ne_u16_sdwa s[20:21], v17, v41 src0_sel:BYTE_0 src1_sel:DWORD
                                        ; implicit-def: $vgpr19
	s_and_saveexec_b64 s[74:75], s[14:15]
	s_xor_b64 s[74:75], exec, s[74:75]
	s_cbranch_execz .LBB4_402
; %bb.389:                              ;   in Loop: Header=BB4_108 Depth=3
	v_mov_b32_e32 v20, 0
	v_mov_b32_e32 v19, 0
	s_and_saveexec_b64 s[76:77], s[20:21]
	s_cbranch_execz .LBB4_395
; %bb.390:                              ;   in Loop: Header=BB4_108 Depth=3
	v_cmp_ne_u16_sdwa s[88:89], v17, s38 src0_sel:BYTE_0 src1_sel:DWORD
	v_bfrev_b32_e32 v19, 1
	s_and_saveexec_b64 s[78:79], s[88:89]
	s_cbranch_execz .LBB4_394
; %bb.391:                              ;   in Loop: Header=BB4_108 Depth=3
	v_bfe_u32 v22, v21, 16, 7
	v_cmp_ne_u32_e32 vcc, s39, v22
	v_mov_b32_e32 v19, 0x7f800001
	s_and_saveexec_b64 s[88:89], vcc
	s_cbranch_execz .LBB4_393
; %bb.392:                              ;   in Loop: Header=BB4_108 Depth=3
	v_and_b32_e32 v19, 7, v17
	v_lshrrev_b32_e32 v56, 3, v22
	v_cmp_gt_u32_e32 vcc, 8, v22
	v_ffbh_u32_e32 v22, v19
	v_min_u32_e32 v22, 32, v22
	v_subrev_u32_e32 v27, 28, v22
	v_lshlrev_b64 v[27:28], v27, v[17:18]
	v_sub_u32_e32 v22, 29, v22
	v_and_b32_e32 v27, 7, v27
	v_cndmask_b32_e32 v22, v56, v22, vcc
	v_cndmask_b32_e32 v19, v19, v27, vcc
	v_lshlrev_b32_e32 v17, 24, v17
	v_lshlrev_b32_e32 v19, 20, v19
	v_and_b32_e32 v17, 0x80000000, v17
	v_lshl_add_u32 v22, v22, 23, v26
	v_or3_b32 v19, v17, v22, v19
.LBB4_393:                              ;   in Loop: Header=BB4_108 Depth=3
	s_or_b64 exec, exec, s[88:89]
.LBB4_394:                              ;   in Loop: Header=BB4_108 Depth=3
	s_or_b64 exec, exec, s[78:79]
.LBB4_395:                              ;   in Loop: Header=BB4_108 Depth=3
	s_or_b64 exec, exec, s[76:77]
	v_and_b32_sdwa v17, v40, s37 dst_sel:DWORD dst_unused:UNUSED_PAD src0_sel:WORD_1 src1_sel:DWORD
	v_cmp_ne_u16_e32 vcc, 0, v17
	s_and_saveexec_b64 s[76:77], vcc
	s_cbranch_execz .LBB4_401
; %bb.396:                              ;   in Loop: Header=BB4_108 Depth=3
	v_cmp_ne_u16_e32 vcc, s38, v17
	v_bfrev_b32_e32 v20, 1
	s_and_saveexec_b64 s[78:79], vcc
	s_cbranch_execz .LBB4_400
; %bb.397:                              ;   in Loop: Header=BB4_108 Depth=3
	v_bfe_u32 v17, v40, 16, 7
	v_cmp_ne_u32_e32 vcc, s39, v17
	v_mov_b32_e32 v20, 0x7f800001
	s_and_saveexec_b64 s[88:89], vcc
	s_cbranch_execz .LBB4_399
; %bb.398:                              ;   in Loop: Header=BB4_108 Depth=3
	v_and_b32_e32 v20, 7, v0
	v_lshrrev_b32_e32 v22, 3, v17
	v_cmp_gt_u32_e32 vcc, 8, v17
	v_ffbh_u32_e32 v17, v20
	v_min_u32_e32 v17, 32, v17
	v_subrev_u32_e32 v27, 28, v17
	v_lshlrev_b64 v[27:28], v27, v[0:1]
	v_sub_u32_e32 v0, 29, v17
	v_and_b32_e32 v17, 7, v27
	v_cndmask_b32_e32 v0, v22, v0, vcc
	v_cndmask_b32_e32 v17, v20, v17, vcc
	v_lshlrev_b32_sdwa v20, v54, v40 dst_sel:DWORD dst_unused:UNUSED_PAD src0_sel:DWORD src1_sel:WORD_1
	v_lshlrev_b32_e32 v17, 20, v17
	v_and_b32_e32 v20, 0x80000000, v20
	v_lshl_add_u32 v0, v0, 23, v26
	v_or3_b32 v20, v20, v0, v17
.LBB4_399:                              ;   in Loop: Header=BB4_108 Depth=3
	s_or_b64 exec, exec, s[88:89]
.LBB4_400:                              ;   in Loop: Header=BB4_108 Depth=3
	s_or_b64 exec, exec, s[78:79]
.LBB4_401:                              ;   in Loop: Header=BB4_108 Depth=3
	s_or_b64 exec, exec, s[76:77]
	v_max_f32_e32 v0, v20, v20
	v_max_f32_e32 v17, v19, v19
	;; [unrolled: 1-line block ×3, first 2 shown]
                                        ; implicit-def: $vgpr17
                                        ; implicit-def: $vgpr0
.LBB4_402:                              ;   in Loop: Header=BB4_108 Depth=3
	s_andn2_saveexec_b64 s[74:75], s[74:75]
	s_cbranch_execz .LBB4_416
; %bb.403:                              ;   in Loop: Header=BB4_108 Depth=3
	v_mov_b32_e32 v20, 0
	v_mov_b32_e32 v19, 0
	s_and_saveexec_b64 s[76:77], s[20:21]
	s_cbranch_execz .LBB4_409
; %bb.404:                              ;   in Loop: Header=BB4_108 Depth=3
	v_cmp_ne_u16_sdwa s[78:79], v17, s38 src0_sel:BYTE_0 src1_sel:DWORD
	v_bfrev_b32_e32 v19, 1
	s_and_saveexec_b64 s[20:21], s[78:79]
	s_cbranch_execz .LBB4_408
; %bb.405:                              ;   in Loop: Header=BB4_108 Depth=3
	v_bfe_u32 v22, v21, 16, 7
	v_cmp_ne_u32_e32 vcc, s39, v22
	v_mov_b32_e32 v19, 0x7f800001
	s_and_saveexec_b64 s[78:79], vcc
	s_cbranch_execz .LBB4_407
; %bb.406:                              ;   in Loop: Header=BB4_108 Depth=3
	v_and_b32_e32 v19, 7, v17
	v_lshrrev_b32_e32 v56, 3, v22
	v_cmp_gt_u32_e32 vcc, 8, v22
	v_ffbh_u32_e32 v22, v19
	v_min_u32_e32 v22, 32, v22
	v_subrev_u32_e32 v27, 28, v22
	v_lshlrev_b64 v[27:28], v27, v[17:18]
	v_sub_u32_e32 v22, 29, v22
	v_and_b32_e32 v27, 7, v27
	v_cndmask_b32_e32 v22, v56, v22, vcc
	v_cndmask_b32_e32 v19, v19, v27, vcc
	v_lshlrev_b32_e32 v17, 24, v17
	v_lshlrev_b32_e32 v19, 20, v19
	v_and_b32_e32 v17, 0x80000000, v17
	v_lshl_add_u32 v22, v22, 23, v26
	v_or3_b32 v19, v17, v22, v19
.LBB4_407:                              ;   in Loop: Header=BB4_108 Depth=3
	s_or_b64 exec, exec, s[78:79]
.LBB4_408:                              ;   in Loop: Header=BB4_108 Depth=3
	s_or_b64 exec, exec, s[20:21]
.LBB4_409:                              ;   in Loop: Header=BB4_108 Depth=3
	s_or_b64 exec, exec, s[76:77]
	v_and_b32_sdwa v17, v40, s37 dst_sel:DWORD dst_unused:UNUSED_PAD src0_sel:WORD_1 src1_sel:DWORD
	v_cmp_ne_u16_e32 vcc, 0, v17
	s_and_saveexec_b64 s[20:21], vcc
	s_cbranch_execz .LBB4_415
; %bb.410:                              ;   in Loop: Header=BB4_108 Depth=3
	v_cmp_ne_u16_e32 vcc, s38, v17
	v_bfrev_b32_e32 v20, 1
	s_and_saveexec_b64 s[76:77], vcc
	s_cbranch_execz .LBB4_414
; %bb.411:                              ;   in Loop: Header=BB4_108 Depth=3
	v_bfe_u32 v17, v40, 16, 7
	v_cmp_ne_u32_e32 vcc, s39, v17
	v_mov_b32_e32 v20, 0x7f800001
	s_and_saveexec_b64 s[78:79], vcc
	s_cbranch_execz .LBB4_413
; %bb.412:                              ;   in Loop: Header=BB4_108 Depth=3
	v_and_b32_e32 v20, 7, v0
	v_lshrrev_b32_e32 v22, 3, v17
	v_cmp_gt_u32_e32 vcc, 8, v17
	v_ffbh_u32_e32 v17, v20
	v_min_u32_e32 v17, 32, v17
	v_subrev_u32_e32 v27, 28, v17
	v_lshlrev_b64 v[27:28], v27, v[0:1]
	v_sub_u32_e32 v0, 29, v17
	v_and_b32_e32 v17, 7, v27
	v_cndmask_b32_e32 v0, v22, v0, vcc
	v_cndmask_b32_e32 v17, v20, v17, vcc
	v_lshlrev_b32_sdwa v20, v54, v40 dst_sel:DWORD dst_unused:UNUSED_PAD src0_sel:DWORD src1_sel:WORD_1
	v_lshlrev_b32_e32 v17, 20, v17
	v_and_b32_e32 v20, 0x80000000, v20
	v_lshl_add_u32 v0, v0, 23, v26
	v_or3_b32 v20, v20, v0, v17
.LBB4_413:                              ;   in Loop: Header=BB4_108 Depth=3
	s_or_b64 exec, exec, s[78:79]
.LBB4_414:                              ;   in Loop: Header=BB4_108 Depth=3
	s_or_b64 exec, exec, s[76:77]
.LBB4_415:                              ;   in Loop: Header=BB4_108 Depth=3
	s_or_b64 exec, exec, s[20:21]
	v_max_f32_e32 v0, v20, v20
	v_max_f32_e32 v17, v19, v19
	v_min_f32_e32 v19, v17, v0
.LBB4_416:                              ;   in Loop: Header=BB4_108 Depth=3
	s_or_b64 exec, exec, s[74:75]
	v_and_b32_e32 v27, 0x7f800000, v19
	v_mov_b32_e32 v28, v41
	v_cmp_ne_u64_e32 vcc, s[56:57], v[27:28]
                                        ; implicit-def: $vgpr27
	s_and_saveexec_b64 s[20:21], vcc
	s_xor_b64 s[74:75], exec, s[20:21]
	s_cbranch_execz .LBB4_430
; %bb.417:                              ;   in Loop: Header=BB4_108 Depth=3
	v_and_b32_e32 v27, 0x7fffffff, v19
	v_mov_b32_e32 v28, v41
	v_cmp_gt_u64_e32 vcc, s[58:59], v[27:28]
	v_and_b32_sdwa v0, v19, s38 dst_sel:DWORD dst_unused:UNUSED_PAD src0_sel:BYTE_3 src1_sel:DWORD
                                        ; implicit-def: $vgpr27
	s_and_saveexec_b64 s[20:21], vcc
	s_xor_b64 s[76:77], exec, s[20:21]
	s_cbranch_execz .LBB4_427
; %bb.418:                              ;   in Loop: Header=BB4_108 Depth=3
	v_mov_b32_e32 v27, 0
	v_cmp_ne_u32_e32 vcc, 0, v19
	s_and_saveexec_b64 s[78:79], vcc
	s_cbranch_execz .LBB4_426
; %bb.419:                              ;   in Loop: Header=BB4_108 Depth=3
	v_bfe_u32 v17, v19, 23, 8
	v_and_b32_e32 v20, 0x7fffff, v19
	v_cmp_gt_u32_e64 s[20:21], s48, v17
	v_sub_u32_e32 v19, 0x79, v17
	v_cmp_eq_u32_e32 vcc, 0, v17
	v_cndmask_b32_e64 v19, 0, v19, s[20:21]
	v_or_b32_e32 v27, 0x800000, v20
	v_cndmask_b32_e32 v22, v19, v7, vcc
	v_cndmask_b32_e32 v19, v27, v20, vcc
	v_add_u32_e32 v27, 20, v22
	v_lshlrev_b64 v[27:28], v27, -1
	v_mov_b32_e32 v20, v41
	v_add_u32_e32 v56, 19, v22
	v_bfi_b32 v27, v27, 0, v19
	v_lshlrev_b64 v[56:57], v56, 1
	v_lshrrev_b64 v[19:20], v22, v[19:20]
	v_bfi_b32 v28, v28, 0, 0
	v_cmp_eq_u64_e64 s[20:21], v[27:28], v[56:57]
	v_mov_b32_e32 v28, v20
	v_mov_b32_e32 v27, v19
	s_and_saveexec_b64 s[88:89], s[20:21]
; %bb.420:                              ;   in Loop: Header=BB4_108 Depth=3
	v_bfe_u32 v20, v19, 20, 1
	v_add_co_u32_e64 v20, s[20:21], v19, v20
	v_add_co_u32_e64 v27, s[20:21], -1, v20
; %bb.421:                              ;   in Loop: Header=BB4_108 Depth=3
	s_or_b64 exec, exec, s[88:89]
	v_add_u32_e32 v17, 0xffffff81, v17
	v_cndmask_b32_e32 v17, v17, v8, vcc
	v_lshrrev_b32_e32 v20, 23, v19
	v_add3_u32 v28, v22, v17, v20
	v_add_u32_e32 v22, 6, v28
	v_and_b32_e32 v17, 0xfffff, v27
	v_add_u32_e32 v19, v17, v19
	v_mov_b32_e32 v20, v41
	v_cmp_ne_u32_e32 vcc, 0, v22
                                        ; implicit-def: $vgpr17
	s_and_saveexec_b64 s[20:21], vcc
	s_xor_b64 s[20:21], exec, s[20:21]
; %bb.422:                              ;   in Loop: Header=BB4_108 Depth=3
	v_cmp_lt_u64_e32 vcc, s[60:61], v[19:20]
	v_add_u32_e32 v17, 7, v28
	v_cndmask_b32_e32 v17, v22, v17, vcc
	v_cndmask_b32_e64 v22, 0, 1, vcc
	v_lshrrev_b64 v[19:20], v22, v[19:20]
; %bb.423:                              ;   in Loop: Header=BB4_108 Depth=3
	s_andn2_saveexec_b64 s[20:21], s[20:21]
; %bb.424:                              ;   in Loop: Header=BB4_108 Depth=3
	v_bfe_u32 v17, v19, 23, 1
; %bb.425:                              ;   in Loop: Header=BB4_108 Depth=3
	s_or_b64 exec, exec, s[20:21]
	v_lshrrev_b64 v[19:20], 20, v[19:20]
	v_cmp_gt_i32_e32 vcc, 16, v17
	v_cndmask_b32_e32 v20, 0, v20, vcc
	v_cndmask_b32_e32 v19, 7, v19, vcc
	v_cmp_eq_u32_e32 vcc, 0, v17
	v_min_i32_e32 v17, 15, v17
	v_cmp_eq_u64_e64 s[20:21], 0, v[19:20]
	v_lshlrev_b32_e32 v17, 3, v17
	v_and_b32_e32 v17, 0xf8, v17
	v_and_or_b32 v17, v19, 7, v17
	s_and_b64 s[20:21], vcc, s[20:21]
	v_cndmask_b32_e64 v17, v17, 0, s[20:21]
	v_or_b32_e32 v27, v17, v0
.LBB4_426:                              ;   in Loop: Header=BB4_108 Depth=3
	s_or_b64 exec, exec, s[78:79]
                                        ; implicit-def: $vgpr0
.LBB4_427:                              ;   in Loop: Header=BB4_108 Depth=3
	s_andn2_saveexec_b64 s[20:21], s[76:77]
; %bb.428:                              ;   in Loop: Header=BB4_108 Depth=3
	v_or_b32_e32 v27, 0x7e, v0
; %bb.429:                              ;   in Loop: Header=BB4_108 Depth=3
	s_or_b64 exec, exec, s[20:21]
                                        ; implicit-def: $vgpr19
.LBB4_430:                              ;   in Loop: Header=BB4_108 Depth=3
	s_andn2_saveexec_b64 s[20:21], s[74:75]
; %bb.431:                              ;   in Loop: Header=BB4_108 Depth=3
	v_or_b32_sdwa v27, v19, s39 dst_sel:DWORD dst_unused:UNUSED_PAD src0_sel:BYTE_3 src1_sel:DWORD
; %bb.432:                              ;   in Loop: Header=BB4_108 Depth=3
	s_or_b64 exec, exec, s[20:21]
	v_and_b32_e32 v19, 0xff000000, v21
	v_mov_b32_e32 v20, v41
	v_cmp_ne_u64_e32 vcc, 0, v[19:20]
	v_lshrrev_b32_e32 v17, 24, v21
	v_lshrrev_b32_e32 v0, 24, v40
                                        ; implicit-def: $vgpr19
	s_and_saveexec_b64 s[20:21], s[14:15]
	s_xor_b64 s[74:75], exec, s[20:21]
	s_cbranch_execz .LBB4_446
; %bb.433:                              ;   in Loop: Header=BB4_108 Depth=3
	v_mov_b32_e32 v20, 0
	v_mov_b32_e32 v19, 0
	s_and_saveexec_b64 s[76:77], vcc
	s_cbranch_execz .LBB4_439
; %bb.434:                              ;   in Loop: Header=BB4_108 Depth=3
	v_cmp_ne_u32_e64 s[20:21], s38, v17
	v_bfrev_b32_e32 v19, 1
	s_and_saveexec_b64 s[78:79], s[20:21]
	s_cbranch_execz .LBB4_438
; %bb.435:                              ;   in Loop: Header=BB4_108 Depth=3
	v_bfe_u32 v21, v21, 24, 7
	v_cmp_ne_u32_e64 s[20:21], s39, v21
	v_mov_b32_e32 v19, 0x7f800001
	s_and_saveexec_b64 s[88:89], s[20:21]
	s_cbranch_execz .LBB4_437
; %bb.436:                              ;   in Loop: Header=BB4_108 Depth=3
	v_and_b32_e32 v19, 7, v17
	v_lshrrev_b32_e32 v28, 3, v21
	v_cmp_gt_u32_e64 s[20:21], 8, v21
	v_ffbh_u32_e32 v21, v19
	v_min_u32_e32 v56, 32, v21
	v_subrev_u32_e32 v21, 28, v56
	v_lshlrev_b64 v[21:22], v21, v[17:18]
	v_sub_u32_e32 v22, 29, v56
	v_and_b32_e32 v21, 7, v21
	v_cndmask_b32_e64 v22, v28, v22, s[20:21]
	v_cndmask_b32_e64 v19, v19, v21, s[20:21]
	v_lshlrev_b32_e32 v17, 24, v17
	v_lshlrev_b32_e32 v19, 20, v19
	v_and_b32_e32 v17, 0x80000000, v17
	v_lshl_add_u32 v21, v22, 23, v26
	v_or3_b32 v19, v17, v21, v19
.LBB4_437:                              ;   in Loop: Header=BB4_108 Depth=3
	s_or_b64 exec, exec, s[88:89]
.LBB4_438:                              ;   in Loop: Header=BB4_108 Depth=3
	s_or_b64 exec, exec, s[78:79]
.LBB4_439:                              ;   in Loop: Header=BB4_108 Depth=3
	s_or_b64 exec, exec, s[76:77]
	v_cmp_lt_u32_e64 s[20:21], s49, v40
	s_and_saveexec_b64 s[76:77], s[20:21]
	s_cbranch_execz .LBB4_445
; %bb.440:                              ;   in Loop: Header=BB4_108 Depth=3
	v_cmp_ne_u32_sdwa s[20:21], v40, s38 src0_sel:BYTE_3 src1_sel:DWORD
	v_bfrev_b32_e32 v20, 1
	s_and_saveexec_b64 s[78:79], s[20:21]
	s_cbranch_execz .LBB4_444
; %bb.441:                              ;   in Loop: Header=BB4_108 Depth=3
	v_bfe_u32 v17, v40, 24, 7
	v_cmp_ne_u32_e64 s[20:21], s39, v17
	v_mov_b32_e32 v20, 0x7f800001
	s_and_saveexec_b64 s[88:89], s[20:21]
	s_cbranch_execz .LBB4_443
; %bb.442:                              ;   in Loop: Header=BB4_108 Depth=3
	v_and_b32_e32 v22, 7, v0
	v_lshrrev_b32_e32 v28, 3, v17
	v_cmp_gt_u32_e64 s[20:21], 8, v17
	v_ffbh_u32_e32 v17, v22
	v_min_u32_e32 v17, 32, v17
	v_subrev_u32_e32 v20, 28, v17
	v_lshlrev_b64 v[20:21], v20, v[0:1]
	v_sub_u32_e32 v0, 29, v17
	v_and_b32_e32 v17, 7, v20
	v_cndmask_b32_e64 v0, v28, v0, s[20:21]
	v_cndmask_b32_e64 v17, v22, v17, s[20:21]
	v_lshlrev_b32_sdwa v20, v54, v40 dst_sel:DWORD dst_unused:UNUSED_PAD src0_sel:DWORD src1_sel:BYTE_3
	v_lshlrev_b32_e32 v17, 20, v17
	v_and_b32_e32 v20, 0x80000000, v20
	v_lshl_add_u32 v0, v0, 23, v26
	v_or3_b32 v20, v20, v0, v17
.LBB4_443:                              ;   in Loop: Header=BB4_108 Depth=3
	s_or_b64 exec, exec, s[88:89]
.LBB4_444:                              ;   in Loop: Header=BB4_108 Depth=3
	s_or_b64 exec, exec, s[78:79]
.LBB4_445:                              ;   in Loop: Header=BB4_108 Depth=3
	s_or_b64 exec, exec, s[76:77]
	v_max_f32_e32 v0, v20, v20
	v_max_f32_e32 v17, v19, v19
	;; [unrolled: 1-line block ×3, first 2 shown]
                                        ; implicit-def: $vgpr17
                                        ; implicit-def: $vgpr0
                                        ; implicit-def: $vgpr21_vgpr22
.LBB4_446:                              ;   in Loop: Header=BB4_108 Depth=3
	s_andn2_saveexec_b64 s[20:21], s[74:75]
	s_cbranch_execz .LBB4_460
; %bb.447:                              ;   in Loop: Header=BB4_108 Depth=3
	v_mov_b32_e32 v20, 0
	v_mov_b32_e32 v19, 0
	s_and_saveexec_b64 s[74:75], vcc
	s_cbranch_execz .LBB4_453
; %bb.448:                              ;   in Loop: Header=BB4_108 Depth=3
	v_cmp_ne_u32_e32 vcc, s38, v17
	v_bfrev_b32_e32 v19, 1
	s_and_saveexec_b64 s[76:77], vcc
	s_cbranch_execz .LBB4_452
; %bb.449:                              ;   in Loop: Header=BB4_108 Depth=3
	v_bfe_u32 v21, v21, 24, 7
	v_cmp_ne_u32_e32 vcc, s39, v21
	v_mov_b32_e32 v19, 0x7f800001
	s_and_saveexec_b64 s[78:79], vcc
	s_cbranch_execz .LBB4_451
; %bb.450:                              ;   in Loop: Header=BB4_108 Depth=3
	v_and_b32_e32 v19, 7, v17
	v_lshrrev_b32_e32 v28, 3, v21
	v_cmp_gt_u32_e32 vcc, 8, v21
	v_ffbh_u32_e32 v21, v19
	v_min_u32_e32 v56, 32, v21
	v_subrev_u32_e32 v21, 28, v56
	v_lshlrev_b64 v[21:22], v21, v[17:18]
	v_sub_u32_e32 v22, 29, v56
	v_and_b32_e32 v21, 7, v21
	v_cndmask_b32_e32 v22, v28, v22, vcc
	v_cndmask_b32_e32 v19, v19, v21, vcc
	v_lshlrev_b32_e32 v17, 24, v17
	v_lshlrev_b32_e32 v19, 20, v19
	v_and_b32_e32 v17, 0x80000000, v17
	v_lshl_add_u32 v21, v22, 23, v26
	v_or3_b32 v19, v17, v21, v19
.LBB4_451:                              ;   in Loop: Header=BB4_108 Depth=3
	s_or_b64 exec, exec, s[78:79]
.LBB4_452:                              ;   in Loop: Header=BB4_108 Depth=3
	s_or_b64 exec, exec, s[76:77]
.LBB4_453:                              ;   in Loop: Header=BB4_108 Depth=3
	s_or_b64 exec, exec, s[74:75]
	v_cmp_lt_u32_e32 vcc, s49, v40
	s_and_saveexec_b64 s[74:75], vcc
	s_cbranch_execz .LBB4_459
; %bb.454:                              ;   in Loop: Header=BB4_108 Depth=3
	v_cmp_ne_u32_sdwa s[78:79], v40, s38 src0_sel:BYTE_3 src1_sel:DWORD
	v_bfrev_b32_e32 v20, 1
	s_and_saveexec_b64 s[76:77], s[78:79]
	s_cbranch_execz .LBB4_458
; %bb.455:                              ;   in Loop: Header=BB4_108 Depth=3
	v_bfe_u32 v17, v40, 24, 7
	v_cmp_ne_u32_e32 vcc, s39, v17
	v_mov_b32_e32 v20, 0x7f800001
	s_and_saveexec_b64 s[78:79], vcc
	s_cbranch_execz .LBB4_457
; %bb.456:                              ;   in Loop: Header=BB4_108 Depth=3
	v_and_b32_e32 v22, 7, v0
	v_lshrrev_b32_e32 v28, 3, v17
	v_cmp_gt_u32_e32 vcc, 8, v17
	v_ffbh_u32_e32 v17, v22
	v_min_u32_e32 v17, 32, v17
	v_subrev_u32_e32 v20, 28, v17
	v_lshlrev_b64 v[20:21], v20, v[0:1]
	v_sub_u32_e32 v0, 29, v17
	v_and_b32_e32 v17, 7, v20
	v_cndmask_b32_e32 v0, v28, v0, vcc
	v_cndmask_b32_e32 v17, v22, v17, vcc
	v_lshlrev_b32_sdwa v20, v54, v40 dst_sel:DWORD dst_unused:UNUSED_PAD src0_sel:DWORD src1_sel:BYTE_3
	v_lshlrev_b32_e32 v17, 20, v17
	v_and_b32_e32 v20, 0x80000000, v20
	v_lshl_add_u32 v0, v0, 23, v26
	v_or3_b32 v20, v20, v0, v17
.LBB4_457:                              ;   in Loop: Header=BB4_108 Depth=3
	s_or_b64 exec, exec, s[78:79]
.LBB4_458:                              ;   in Loop: Header=BB4_108 Depth=3
	s_or_b64 exec, exec, s[76:77]
.LBB4_459:                              ;   in Loop: Header=BB4_108 Depth=3
	s_or_b64 exec, exec, s[74:75]
	v_max_f32_e32 v0, v20, v20
	v_max_f32_e32 v17, v19, v19
	v_min_f32_e32 v19, v17, v0
.LBB4_460:                              ;   in Loop: Header=BB4_108 Depth=3
	s_or_b64 exec, exec, s[20:21]
	v_and_b32_e32 v40, 0x7f800000, v19
	v_cmp_ne_u64_e32 vcc, s[56:57], v[40:41]
                                        ; implicit-def: $vgpr17
	s_and_saveexec_b64 s[20:21], vcc
	s_xor_b64 s[74:75], exec, s[20:21]
	s_cbranch_execz .LBB4_474
; %bb.461:                              ;   in Loop: Header=BB4_108 Depth=3
	v_and_b32_e32 v40, 0x7fffffff, v19
	v_cmp_gt_u64_e32 vcc, s[58:59], v[40:41]
	v_and_b32_sdwa v0, v19, s38 dst_sel:DWORD dst_unused:UNUSED_PAD src0_sel:BYTE_3 src1_sel:DWORD
                                        ; implicit-def: $vgpr17
	s_and_saveexec_b64 s[20:21], vcc
	s_xor_b64 s[76:77], exec, s[20:21]
	s_cbranch_execz .LBB4_471
; %bb.462:                              ;   in Loop: Header=BB4_108 Depth=3
	v_mov_b32_e32 v17, 0
	v_cmp_ne_u32_e32 vcc, 0, v19
	s_and_saveexec_b64 s[78:79], vcc
	s_cbranch_execz .LBB4_470
; %bb.463:                              ;   in Loop: Header=BB4_108 Depth=3
	v_bfe_u32 v17, v19, 23, 8
	v_and_b32_e32 v20, 0x7fffff, v19
	v_cmp_gt_u32_e64 s[20:21], s48, v17
	v_sub_u32_e32 v19, 0x79, v17
	v_cmp_eq_u32_e32 vcc, 0, v17
	v_cndmask_b32_e64 v19, 0, v19, s[20:21]
	v_cndmask_b32_e32 v22, v19, v7, vcc
	v_or_b32_e32 v21, 0x800000, v20
	v_add_u32_e32 v19, 20, v22
	v_cndmask_b32_e32 v40, v21, v20, vcc
	v_lshlrev_b64 v[19:20], v19, -1
	v_add_u32_e32 v21, 19, v22
	v_lshlrev_b64 v[56:57], v21, 1
	v_bfi_b32 v20, v20, 0, 0
	v_bfi_b32 v19, v19, 0, v40
	v_cmp_eq_u64_e64 s[20:21], v[19:20], v[56:57]
	v_lshrrev_b64 v[19:20], v22, v[40:41]
	v_mov_b32_e32 v21, v20
	v_mov_b32_e32 v20, v19
	s_and_saveexec_b64 s[88:89], s[20:21]
; %bb.464:                              ;   in Loop: Header=BB4_108 Depth=3
	v_bfe_u32 v20, v19, 20, 1
	v_add_co_u32_e64 v20, s[20:21], v19, v20
	v_add_co_u32_e64 v20, s[20:21], -1, v20
; %bb.465:                              ;   in Loop: Header=BB4_108 Depth=3
	s_or_b64 exec, exec, s[88:89]
	v_add_u32_e32 v17, 0xffffff81, v17
	v_cndmask_b32_e32 v17, v17, v8, vcc
	v_lshrrev_b32_e32 v21, 23, v19
	v_add3_u32 v22, v22, v17, v21
	v_add_u32_e32 v21, 6, v22
	v_and_b32_e32 v17, 0xfffff, v20
	v_add_u32_e32 v40, v17, v19
	v_cmp_ne_u32_e32 vcc, 0, v21
                                        ; implicit-def: $vgpr19_vgpr20
                                        ; implicit-def: $vgpr17
	s_and_saveexec_b64 s[20:21], vcc
	s_xor_b64 s[20:21], exec, s[20:21]
; %bb.466:                              ;   in Loop: Header=BB4_108 Depth=3
	v_cmp_lt_u64_e32 vcc, s[60:61], v[40:41]
	v_add_u32_e32 v17, 7, v22
	v_cndmask_b32_e64 v19, 0, 1, vcc
	v_cndmask_b32_e32 v17, v21, v17, vcc
	v_lshrrev_b64 v[19:20], v19, v[40:41]
; %bb.467:                              ;   in Loop: Header=BB4_108 Depth=3
	s_andn2_saveexec_b64 s[20:21], s[20:21]
; %bb.468:                              ;   in Loop: Header=BB4_108 Depth=3
	v_mov_b32_e32 v19, v40
	v_bfe_u32 v17, v40, 23, 1
	v_mov_b32_e32 v20, v41
; %bb.469:                              ;   in Loop: Header=BB4_108 Depth=3
	s_or_b64 exec, exec, s[20:21]
	v_lshrrev_b64 v[19:20], 20, v[19:20]
	v_cmp_gt_i32_e32 vcc, 16, v17
	v_cndmask_b32_e32 v20, 0, v20, vcc
	v_cndmask_b32_e32 v19, 7, v19, vcc
	v_cmp_eq_u32_e32 vcc, 0, v17
	v_min_i32_e32 v17, 15, v17
	v_cmp_eq_u64_e64 s[20:21], 0, v[19:20]
	v_lshlrev_b32_e32 v17, 3, v17
	v_and_b32_e32 v17, 0xf8, v17
	v_and_or_b32 v17, v19, 7, v17
	s_and_b64 s[20:21], vcc, s[20:21]
	v_cndmask_b32_e64 v17, v17, 0, s[20:21]
	v_or_b32_e32 v17, v17, v0
.LBB4_470:                              ;   in Loop: Header=BB4_108 Depth=3
	s_or_b64 exec, exec, s[78:79]
                                        ; implicit-def: $vgpr0
.LBB4_471:                              ;   in Loop: Header=BB4_108 Depth=3
	s_andn2_saveexec_b64 s[20:21], s[76:77]
; %bb.472:                              ;   in Loop: Header=BB4_108 Depth=3
	v_or_b32_e32 v17, 0x7e, v0
; %bb.473:                              ;   in Loop: Header=BB4_108 Depth=3
	s_or_b64 exec, exec, s[20:21]
                                        ; implicit-def: $vgpr19
.LBB4_474:                              ;   in Loop: Header=BB4_108 Depth=3
	s_andn2_saveexec_b64 s[20:21], s[74:75]
	s_cbranch_execz .LBB4_107
; %bb.475:                              ;   in Loop: Header=BB4_108 Depth=3
	v_or_b32_sdwa v17, v19, s39 dst_sel:DWORD dst_unused:UNUSED_PAD src0_sel:BYTE_3 src1_sel:DWORD
	s_branch .LBB4_107
.LBB4_476:                              ;   in Loop: Header=BB4_70 Depth=2
	s_or_b64 exec, exec, s[62:63]
	s_and_saveexec_b64 s[20:21], s[10:11]
	s_cbranch_execz .LBB4_489
.LBB4_477:                              ;   in Loop: Header=BB4_70 Depth=2
	s_and_saveexec_b64 s[62:63], s[42:43]
	s_xor_b64 s[62:63], exec, s[62:63]
	s_cbranch_execz .LBB4_498
; %bb.478:                              ;   in Loop: Header=BB4_70 Depth=2
	s_and_saveexec_b64 s[72:73], s[12:13]
	s_cbranch_execz .LBB4_497
; %bb.479:                              ;   in Loop: Header=BB4_70 Depth=2
	s_mov_b64 s[76:77], exec
	s_waitcnt vmcnt(0) lgkmcnt(0)
	v_mbcnt_lo_u32_b32 v0, s76, 0
	v_mbcnt_hi_u32_b32 v0, s77, v0
	v_cmp_eq_u32_e32 vcc, 0, v0
	buffer_wbinvl1_vol
	s_and_saveexec_b64 s[74:75], vcc
	s_cbranch_execz .LBB4_481
; %bb.480:                              ;   in Loop: Header=BB4_70 Depth=2
	s_bcnt1_i32_b64 s28, s[76:77]
	v_mov_b32_e32 v40, s28
	ds_add_u64 v0, v[40:41]
	s_trap 2
.LBB4_481:                              ;   in Loop: Header=BB4_70 Depth=2
	s_or_b64 exec, exec, s[74:75]
	s_trap 2
	ds_read_b64 v[9:10], v0
	s_waitcnt lgkmcnt(0)
	buffer_load_dword v0, off, s[0:3], s32 offset:96 ; 4-byte Folded Reload
	s_waitcnt vmcnt(0)
	v_add_co_u32_e32 v2, vcc, v2, v0
	v_addc_co_u32_e32 v3, vcc, 0, v3, vcc
	v_cmp_lt_u64_e32 vcc, v[9:10], v[2:3]
	s_and_saveexec_b64 s[74:75], vcc
	s_cbranch_execz .LBB4_496
; %bb.482:                              ;   in Loop: Header=BB4_70 Depth=2
	s_mov_b32 s28, 0
	s_mov_b64 s[76:77], 0
                                        ; implicit-def: $sgpr78_sgpr79
                                        ; implicit-def: $sgpr88_sgpr89
	s_branch .LBB4_484
.LBB4_483:                              ;   in Loop: Header=BB4_484 Depth=3
	s_or_b64 exec, exec, s[92:93]
	s_and_b64 s[90:91], exec, s[94:95]
	s_or_b64 s[76:77], s[90:91], s[76:77]
	s_andn2_b64 s[78:79], s[78:79], exec
	s_and_b64 s[90:91], s[88:89], exec
	s_or_b64 s[78:79], s[78:79], s[90:91]
	s_andn2_b64 exec, exec, s[76:77]
	s_cbranch_execz .LBB4_494
.LBB4_484:                              ;   Parent Loop BB4_21 Depth=1
                                        ;     Parent Loop BB4_70 Depth=2
                                        ; =>    This Inner Loop Header: Depth=3
	s_add_i32 s28, s28, 1
	s_cmpk_lg_i32 s28, 0x2710
	s_cselect_b64 s[90:91], -1, 0
	s_and_b64 vcc, exec, s[90:91]
	s_cbranch_vccz .LBB4_486
; %bb.485:                              ;   in Loop: Header=BB4_484 Depth=3
	s_mov_b64 s[94:95], -1
	s_or_b64 s[88:89], s[88:89], exec
	s_and_saveexec_b64 s[92:93], s[90:91]
	s_cbranch_execz .LBB4_483
	s_branch .LBB4_487
.LBB4_486:                              ;   in Loop: Header=BB4_484 Depth=3
	s_trap 2
	ds_read_b64 v[9:10], v0
	s_andn2_b64 s[90:91], s[90:91], exec
	s_mov_b32 s28, 0
	s_waitcnt lgkmcnt(0)
	flat_load_dword v0, v[9:10] glc
	s_waitcnt vmcnt(0) lgkmcnt(0)
	buffer_wbinvl1_vol
	v_cmp_eq_u32_e32 vcc, 0, v0
	s_and_b64 s[92:93], vcc, exec
	s_or_b64 s[90:91], s[90:91], s[92:93]
	s_mov_b64 s[94:95], -1
	s_or_b64 s[88:89], s[88:89], exec
	s_and_saveexec_b64 s[92:93], s[90:91]
	s_cbranch_execz .LBB4_483
.LBB4_487:                              ;   in Loop: Header=BB4_484 Depth=3
	s_sleep 1
	s_trap 2
	ds_read_b64 v[9:10], v0
	s_waitcnt lgkmcnt(0)
	s_andn2_b64 s[88:89], s[88:89], exec
	v_cmp_ge_u64_e32 vcc, v[9:10], v[2:3]
	s_orn2_b64 s[94:95], vcc, exec
	s_branch .LBB4_483
.LBB4_488:                              ;   in Loop: Header=BB4_70 Depth=2
	s_or_b64 exec, exec, s[72:73]
	s_or_b64 exec, exec, s[62:63]
	s_and_saveexec_b64 s[20:21], s[10:11]
	s_cbranch_execnz .LBB4_477
.LBB4_489:                              ;   in Loop: Header=BB4_70 Depth=2
	s_or_b64 exec, exec, s[20:21]
	s_and_saveexec_b64 s[20:21], s[16:17]
	s_cbranch_execz .LBB4_491
.LBB4_490:                              ;   in Loop: Header=BB4_70 Depth=2
	buffer_load_dword v9, off, s[0:3], s32 offset:68 ; 4-byte Folded Reload
	buffer_load_dword v10, off, s[0:3], s32 offset:72 ; 4-byte Folded Reload
	v_add_co_u32_e32 v38, vcc, 1, v38
	v_addc_co_u32_e32 v39, vcc, 0, v39, vcc
	s_waitcnt vmcnt(0)
	flat_store_dwordx2 v[9:10], v[38:39]
.LBB4_491:                              ;   in Loop: Header=BB4_70 Depth=2
	s_or_b64 exec, exec, s[20:21]
	v_and_b32_e32 v40, 0x7ffffff8, v46
	v_cmp_eq_u64_e32 vcc, s[46:47], v[40:41]
	v_cmp_gt_i32_e64 s[20:21], s36, v58
	s_and_b64 s[20:21], vcc, s[20:21]
	s_and_saveexec_b64 s[62:63], s[20:21]
	s_cbranch_execz .LBB4_69
; %bb.492:                              ;   in Loop: Header=BB4_70 Depth=2
	s_waitcnt vmcnt(0) lgkmcnt(0)
	v_and_b32_e32 v0, 7, v49
	v_mul_lo_u32 v9, s36, v0
	v_ashrrev_i32_e32 v59, 31, v58
	v_lshlrev_b64 v[19:20], 4, v[58:59]
	v_mov_b32_e32 v17, v41
	v_ashrrev_i32_e32 v10, 31, v9
	v_lshlrev_b64 v[9:10], 4, v[9:10]
	s_mov_b64 s[72:73], 0
	v_add_co_u32_e32 v0, vcc, v19, v9
	v_addc_co_u32_e32 v9, vcc, v20, v10, vcc
	v_add_co_u32_e32 v21, vcc, v36, v0
	v_addc_co_u32_e32 v22, vcc, v37, v9, vcc
.LBB4_493:                              ;   Parent Loop BB4_21 Depth=1
                                        ;     Parent Loop BB4_70 Depth=2
                                        ; =>    This Inner Loop Header: Depth=3
	v_mov_b32_e32 v19, v17
	v_mov_b32_e32 v20, v18
	v_add_u32_e32 v58, v58, v1
	global_store_dwordx4 v[21:22], v[17:20], off
	v_add_co_u32_e32 v21, vcc, v21, v5
	v_cmp_le_i32_e64 s[20:21], s36, v58
	s_or_b64 s[72:73], s[20:21], s[72:73]
	v_addc_co_u32_e32 v22, vcc, v22, v6, vcc
	s_andn2_b64 exec, exec, s[72:73]
	s_cbranch_execnz .LBB4_493
	s_branch .LBB4_69
.LBB4_494:                              ;   in Loop: Header=BB4_70 Depth=2
	s_or_b64 exec, exec, s[76:77]
	s_and_saveexec_b64 s[76:77], s[78:79]
	s_xor_b64 s[76:77], exec, s[76:77]
	s_cbranch_execz .LBB4_496
; %bb.495:                              ;   in Loop: Header=BB4_70 Depth=2
	v_mov_b32_e32 v0, 1
	ds_write_b32 v0, v0
	s_trap 2
.LBB4_496:                              ;   in Loop: Header=BB4_70 Depth=2
	s_or_b64 exec, exec, s[74:75]
	;;#ASMSTART
	s_wakeup
	;;#ASMEND
.LBB4_497:                              ;   in Loop: Header=BB4_70 Depth=2
	s_or_b64 exec, exec, s[72:73]
.LBB4_498:                              ;   in Loop: Header=BB4_70 Depth=2
	s_andn2_saveexec_b64 s[62:63], s[62:63]
	s_cbranch_execz .LBB4_500
; %bb.499:                              ;   in Loop: Header=BB4_70 Depth=2
	s_waitcnt vmcnt(0) lgkmcnt(0)
	buffer_wbinvl1_vol
	s_barrier
.LBB4_500:                              ;   in Loop: Header=BB4_70 Depth=2
	s_or_b64 exec, exec, s[62:63]
	s_or_b64 exec, exec, s[20:21]
	s_and_saveexec_b64 s[20:21], s[16:17]
	s_cbranch_execnz .LBB4_490
	s_branch .LBB4_491
.LBB4_501:                              ;   in Loop: Header=BB4_21 Depth=1
	buffer_load_dword v48, off, s[0:3], s32 offset:152 ; 4-byte Folded Reload
	buffer_load_dword v49, off, s[0:3], s32 offset:156 ; 4-byte Folded Reload
.LBB4_502:                              ;   in Loop: Header=BB4_21 Depth=1
	v_mov_b32_e32 v21, v46
	v_mov_b32_e32 v22, v47
	buffer_load_dword v25, off, s[0:3], s32 offset:116 ; 4-byte Folded Reload
	buffer_load_dword v27, off, s[0:3], s32 offset:120 ; 4-byte Folded Reload
	s_and_saveexec_b64 s[20:21], s[18:19]
	s_cbranch_execz .LBB4_892
; %bb.503:                              ;   in Loop: Header=BB4_21 Depth=1
	s_waitcnt vmcnt(0) lgkmcnt(0)
	flat_load_dword v0, v[23:24]
	buffer_load_dword v17, off, s[0:3], s32 offset:168 ; 4-byte Folded Reload
	buffer_load_dword v18, off, s[0:3], s32 offset:172 ; 4-byte Folded Reload
	;; [unrolled: 1-line block ×6, first 2 shown]
	v_add_u32_e32 v58, 1, v34
	s_mov_b64 s[62:63], 0
	v_mov_b32_e32 v56, v4
	s_waitcnt vmcnt(0) lgkmcnt(0)
	v_ashrrev_i32_e32 v11, 31, v0
	v_mov_b32_e32 v9, v19
	v_mov_b32_e32 v10, v20
	v_add_co_u32_e32 v9, vcc, v9, v25
	v_addc_co_u32_e32 v10, vcc, v10, v27, vcc
	v_mul_lo_u32 v17, v17, v0
	v_mul_lo_u32 v11, v18, v11
	v_mad_u64_u32 v[9:10], s[18:19], v18, v0, v[9:10]
	v_add3_u32 v0, v17, v10, v11
	buffer_load_dword v10, off, s[0:3], s32 offset:124 ; 4-byte Folded Reload
	s_waitcnt vmcnt(0)
	v_add_co_u32_e32 v48, vcc, v9, v10
	v_addc_co_u32_e32 v49, vcc, 0, v0, vcc
	buffer_load_dword v0, off, s[0:3], s32 offset:192 ; 4-byte Folded Reload
	s_waitcnt vmcnt(0)
	v_add_co_u32_e32 v46, vcc, v0, v25
	buffer_load_dword v0, off, s[0:3], s32 offset:196 ; 4-byte Folded Reload
	buffer_load_dword v17, off, s[0:3], s32 offset:76 ; 4-byte Folded Reload
	;; [unrolled: 1-line block ×3, first 2 shown]
	s_waitcnt vmcnt(2)
	v_addc_co_u32_e32 v47, vcc, v0, v27, vcc
	v_and_b32_e32 v0, 7, v34
	v_mul_lo_u32 v9, v0, s36
	v_ashrrev_i32_e32 v10, 31, v9
	v_lshlrev_b64 v[9:10], 4, v[9:10]
	s_waitcnt vmcnt(1)
	v_add_co_u32_e32 v42, vcc, v17, v9
	s_waitcnt vmcnt(0)
	v_addc_co_u32_e32 v43, vcc, v18, v10, vcc
	s_branch .LBB4_505
.LBB4_504:                              ;   in Loop: Header=BB4_505 Depth=2
	v_add_co_u32_e32 v48, vcc, v48, v12
	v_addc_co_u32_e32 v49, vcc, 0, v49, vcc
	v_add_co_u32_e32 v46, vcc, v46, v12
	v_addc_co_u32_e32 v47, vcc, 0, v47, vcc
	v_sub_u32_e32 v32, v32, v12
	v_cmp_gt_i32_e32 vcc, 1, v32
	s_or_b64 s[62:63], vcc, s[62:63]
	v_add_u32_e32 v56, v56, v1
	s_andn2_b64 exec, exec, s[62:63]
	s_cbranch_execz .LBB4_891
.LBB4_505:                              ;   Parent Loop BB4_21 Depth=1
                                        ; =>  This Loop Header: Depth=2
                                        ;       Child Loop BB4_513 Depth 3
	v_and_b32_e32 v17, -4, v48
	v_mov_b32_e32 v18, v49
	global_load_dword v0, v[17:18], off glc slc
	v_min_u32_e32 v9, 8, v32
	v_and_b32_e32 v10, 3, v48
	v_add_u32_e32 v40, v10, v9
	v_cmp_lt_u32_e32 vcc, 4, v40
	v_mov_b32_e32 v25, 0
	v_mov_b32_e32 v31, 0
	s_and_saveexec_b64 s[18:19], vcc
	s_cbranch_execz .LBB4_507
; %bb.506:                              ;   in Loop: Header=BB4_505 Depth=2
	global_load_dword v31, v[17:18], off offset:4 glc slc
.LBB4_507:                              ;   in Loop: Header=BB4_505 Depth=2
	s_or_b64 exec, exec, s[18:19]
	v_cmp_lt_u64_e32 vcc, 8, v[40:41]
	s_and_saveexec_b64 s[18:19], vcc
	s_cbranch_execz .LBB4_509
; %bb.508:                              ;   in Loop: Header=BB4_505 Depth=2
	global_load_dword v25, v[17:18], off offset:8 glc slc
.LBB4_509:                              ;   in Loop: Header=BB4_505 Depth=2
	s_or_b64 exec, exec, s[18:19]
	v_mov_b32_e32 v57, v41
	v_lshlrev_b64 v[9:10], 4, v[56:57]
	v_add_co_u32_e32 v29, vcc, v42, v9
	v_addc_co_u32_e32 v30, vcc, v43, v10, vcc
	global_load_dwordx4 v[17:20], v[29:30], off glc slc
	v_cmp_eq_u32_e32 vcc, 0, v55
	v_mov_b32_e32 v55, 1
	s_and_saveexec_b64 s[72:73], vcc
	s_cbranch_execz .LBB4_521
; %bb.510:                              ;   in Loop: Header=BB4_505 Depth=2
	s_waitcnt vmcnt(0)
	v_cmp_ne_u32_e32 vcc, v58, v18
	v_cmp_ne_u32_e64 s[18:19], v58, v20
	s_or_b64 s[18:19], vcc, s[18:19]
	v_mov_b32_e32 v55, 0
	s_and_saveexec_b64 s[74:75], s[18:19]
	s_cbranch_execz .LBB4_520
; %bb.511:                              ;   in Loop: Header=BB4_505 Depth=2
	s_mov_b32 s28, 1
	s_mov_b64 s[78:79], 0
                                        ; implicit-def: $sgpr76_sgpr77
                                        ; implicit-def: $sgpr88_sgpr89
	s_branch .LBB4_513
.LBB4_512:                              ;   in Loop: Header=BB4_513 Depth=3
	s_or_b64 exec, exec, s[92:93]
	s_and_b64 s[18:19], exec, s[18:19]
	s_or_b64 s[78:79], s[18:19], s[78:79]
	s_andn2_b64 s[18:19], s[76:77], exec
	s_and_b64 s[76:77], s[88:89], exec
	s_or_b64 s[76:77], s[18:19], s[76:77]
	s_andn2_b64 exec, exec, s[78:79]
	s_cbranch_execz .LBB4_517
.LBB4_513:                              ;   Parent Loop BB4_21 Depth=1
                                        ;     Parent Loop BB4_505 Depth=2
                                        ; =>    This Inner Loop Header: Depth=3
	global_load_dwordx4 v[17:20], v[29:30], off glc slc
	s_add_i32 s28, s28, 1
	s_mov_b64 s[18:19], -1
	s_cmpk_lg_i32 s28, 0x2710
	s_mov_b64 s[90:91], -1
                                        ; implicit-def: $vgpr9
	s_cbranch_scc0 .LBB4_515
; %bb.514:                              ;   in Loop: Header=BB4_513 Depth=3
	s_or_b64 s[88:89], s[88:89], exec
	s_and_saveexec_b64 s[92:93], s[90:91]
	s_cbranch_execz .LBB4_512
	s_branch .LBB4_516
.LBB4_515:                              ;   in Loop: Header=BB4_513 Depth=3
	s_trap 2
	ds_read_b64 v[9:10], v0
	s_mov_b32 s28, 0
	s_waitcnt vmcnt(0) lgkmcnt(0)
	flat_load_dword v9, v[9:10] glc
	s_waitcnt vmcnt(0) lgkmcnt(0)
	buffer_wbinvl1_vol
	v_cmp_eq_u32_e32 vcc, 0, v9
	s_orn2_b64 s[90:91], vcc, exec
	s_or_b64 s[88:89], s[88:89], exec
	s_and_saveexec_b64 s[92:93], s[90:91]
	s_cbranch_execz .LBB4_512
.LBB4_516:                              ;   in Loop: Header=BB4_513 Depth=3
	s_waitcnt vmcnt(0)
	v_cmp_eq_u32_e32 vcc, v58, v18
	v_cmp_eq_u32_e64 s[18:19], v58, v20
	s_and_b64 s[18:19], vcc, s[18:19]
	s_andn2_b64 s[88:89], s[88:89], exec
	s_orn2_b64 s[18:19], s[18:19], exec
	s_branch .LBB4_512
.LBB4_517:                              ;   in Loop: Header=BB4_505 Depth=2
	s_or_b64 exec, exec, s[78:79]
	v_mov_b32_e32 v55, 0
	s_and_saveexec_b64 s[18:19], s[76:77]
	s_xor_b64 s[18:19], exec, s[18:19]
	s_cbranch_execz .LBB4_519
; %bb.518:                              ;   in Loop: Header=BB4_505 Depth=2
	v_mov_b32_e32 v55, 1
	ds_write_b32 v0, v9
	s_trap 2
.LBB4_519:                              ;   in Loop: Header=BB4_505 Depth=2
	s_or_b64 exec, exec, s[18:19]
.LBB4_520:                              ;   in Loop: Header=BB4_505 Depth=2
	s_or_b64 exec, exec, s[74:75]
.LBB4_521:                              ;   in Loop: Header=BB4_505 Depth=2
	s_or_b64 exec, exec, s[72:73]
	s_waitcnt vmcnt(0)
	v_lshlrev_b32_e32 v20, 3, v48
	v_alignbit_b32 v40, v31, v0, v20
	v_cmp_ne_u16_sdwa s[18:19], v17, v41 src0_sel:BYTE_0 src1_sel:DWORD
                                        ; implicit-def: $vgpr10
	s_and_saveexec_b64 s[72:73], s[14:15]
	s_xor_b64 s[72:73], exec, s[72:73]
	s_cbranch_execz .LBB4_535
; %bb.522:                              ;   in Loop: Header=BB4_505 Depth=2
	v_mov_b32_e32 v9, 0
	v_mov_b32_e32 v0, 0
	s_and_saveexec_b64 s[74:75], s[18:19]
	s_cbranch_execz .LBB4_528
; %bb.523:                              ;   in Loop: Header=BB4_505 Depth=2
	v_cmp_ne_u16_sdwa s[78:79], v17, s38 src0_sel:BYTE_0 src1_sel:DWORD
	v_bfrev_b32_e32 v0, 1
	s_and_saveexec_b64 s[76:77], s[78:79]
	s_cbranch_execz .LBB4_527
; %bb.524:                              ;   in Loop: Header=BB4_505 Depth=2
	v_and_b32_e32 v10, 0x7f, v17
	v_cmp_ne_u32_e32 vcc, s39, v10
	v_mov_b32_e32 v0, 0x7f800001
	s_and_saveexec_b64 s[78:79], vcc
	s_cbranch_execz .LBB4_526
; %bb.525:                              ;   in Loop: Header=BB4_505 Depth=2
	v_and_b32_e32 v0, 7, v17
	v_ffbh_u32_e32 v0, v0
	v_min_u32_e32 v0, 32, v0
	v_lshrrev_b32_e32 v11, 3, v10
	v_cmp_gt_u32_e32 vcc, 8, v10
	v_subrev_u32_e32 v10, 28, v0
	v_sub_u32_e32 v0, 29, v0
	v_cndmask_b32_e32 v10, 0, v10, vcc
	v_cndmask_b32_e32 v0, v11, v0, vcc
	v_lshlrev_b64 v[10:11], v10, v[17:18]
	v_lshlrev_b32_e32 v11, 24, v17
	v_lshlrev_b32_e32 v10, 20, v10
	v_and_b32_e32 v10, 0x700000, v10
	v_and_b32_e32 v11, 0x80000000, v11
	v_lshl_add_u32 v0, v0, 23, v26
	v_or3_b32 v0, v11, v0, v10
.LBB4_526:                              ;   in Loop: Header=BB4_505 Depth=2
	s_or_b64 exec, exec, s[78:79]
.LBB4_527:                              ;   in Loop: Header=BB4_505 Depth=2
	s_or_b64 exec, exec, s[76:77]
.LBB4_528:                              ;   in Loop: Header=BB4_505 Depth=2
	s_or_b64 exec, exec, s[74:75]
	v_cmp_ne_u16_sdwa s[76:77], v40, v41 src0_sel:BYTE_0 src1_sel:DWORD
	s_and_saveexec_b64 s[74:75], s[76:77]
	s_cbranch_execz .LBB4_534
; %bb.529:                              ;   in Loop: Header=BB4_505 Depth=2
	v_cmp_ne_u16_sdwa s[78:79], v40, s38 src0_sel:BYTE_0 src1_sel:DWORD
	v_bfrev_b32_e32 v9, 1
	s_and_saveexec_b64 s[76:77], s[78:79]
	s_cbranch_execz .LBB4_533
; %bb.530:                              ;   in Loop: Header=BB4_505 Depth=2
	v_and_b32_e32 v10, 0x7f, v40
	v_cmp_ne_u32_e32 vcc, s39, v10
	v_mov_b32_e32 v9, 0x7f800001
	s_and_saveexec_b64 s[78:79], vcc
	s_cbranch_execz .LBB4_532
; %bb.531:                              ;   in Loop: Header=BB4_505 Depth=2
	v_and_b32_e32 v9, 7, v40
	v_ffbh_u32_e32 v9, v9
	v_min_u32_e32 v9, 32, v9
	v_lshrrev_b32_e32 v11, 3, v10
	v_cmp_gt_u32_e32 vcc, 8, v10
	v_subrev_u32_e32 v10, 28, v9
	v_sub_u32_e32 v9, 29, v9
	v_cndmask_b32_e32 v11, v11, v9, vcc
	v_cndmask_b32_e32 v9, 0, v10, vcc
	v_lshlrev_b64 v[9:10], v9, v[40:41]
	v_lshlrev_b32_e32 v10, 24, v40
	v_lshlrev_b32_e32 v9, 20, v9
	v_and_b32_e32 v9, 0x700000, v9
	v_and_b32_e32 v10, 0x80000000, v10
	v_lshl_add_u32 v11, v11, 23, v26
	v_or3_b32 v9, v10, v11, v9
.LBB4_532:                              ;   in Loop: Header=BB4_505 Depth=2
	s_or_b64 exec, exec, s[78:79]
.LBB4_533:                              ;   in Loop: Header=BB4_505 Depth=2
	s_or_b64 exec, exec, s[76:77]
.LBB4_534:                              ;   in Loop: Header=BB4_505 Depth=2
	s_or_b64 exec, exec, s[74:75]
	v_max_f32_e32 v9, v9, v9
	v_max_f32_e32 v0, v0, v0
	;; [unrolled: 1-line block ×3, first 2 shown]
.LBB4_535:                              ;   in Loop: Header=BB4_505 Depth=2
	s_andn2_saveexec_b64 s[72:73], s[72:73]
	s_cbranch_execz .LBB4_549
; %bb.536:                              ;   in Loop: Header=BB4_505 Depth=2
	v_mov_b32_e32 v9, 0
	v_mov_b32_e32 v0, 0
	s_and_saveexec_b64 s[74:75], s[18:19]
	s_cbranch_execz .LBB4_542
; %bb.537:                              ;   in Loop: Header=BB4_505 Depth=2
	v_cmp_ne_u16_sdwa s[76:77], v17, s38 src0_sel:BYTE_0 src1_sel:DWORD
	v_bfrev_b32_e32 v0, 1
	s_and_saveexec_b64 s[18:19], s[76:77]
	s_cbranch_execz .LBB4_541
; %bb.538:                              ;   in Loop: Header=BB4_505 Depth=2
	v_and_b32_e32 v10, 0x7f, v17
	v_cmp_ne_u32_e32 vcc, s39, v10
	v_mov_b32_e32 v0, 0x7f800001
	s_and_saveexec_b64 s[76:77], vcc
	s_cbranch_execz .LBB4_540
; %bb.539:                              ;   in Loop: Header=BB4_505 Depth=2
	v_and_b32_e32 v0, 7, v17
	v_ffbh_u32_e32 v0, v0
	v_min_u32_e32 v0, 32, v0
	v_lshrrev_b32_e32 v11, 3, v10
	v_cmp_gt_u32_e32 vcc, 8, v10
	v_subrev_u32_e32 v10, 28, v0
	v_sub_u32_e32 v0, 29, v0
	v_cndmask_b32_e32 v10, 0, v10, vcc
	v_cndmask_b32_e32 v0, v11, v0, vcc
	v_lshlrev_b64 v[10:11], v10, v[17:18]
	v_lshlrev_b32_e32 v11, 24, v17
	v_lshlrev_b32_e32 v10, 20, v10
	v_and_b32_e32 v10, 0x700000, v10
	v_and_b32_e32 v11, 0x80000000, v11
	v_lshl_add_u32 v0, v0, 23, v26
	v_or3_b32 v0, v11, v0, v10
.LBB4_540:                              ;   in Loop: Header=BB4_505 Depth=2
	s_or_b64 exec, exec, s[76:77]
.LBB4_541:                              ;   in Loop: Header=BB4_505 Depth=2
	s_or_b64 exec, exec, s[18:19]
.LBB4_542:                              ;   in Loop: Header=BB4_505 Depth=2
	s_or_b64 exec, exec, s[74:75]
	v_cmp_ne_u16_sdwa s[74:75], v40, v41 src0_sel:BYTE_0 src1_sel:DWORD
	s_and_saveexec_b64 s[18:19], s[74:75]
	s_cbranch_execz .LBB4_548
; %bb.543:                              ;   in Loop: Header=BB4_505 Depth=2
	v_cmp_ne_u16_sdwa s[76:77], v40, s38 src0_sel:BYTE_0 src1_sel:DWORD
	v_bfrev_b32_e32 v9, 1
	s_and_saveexec_b64 s[74:75], s[76:77]
	s_cbranch_execz .LBB4_547
; %bb.544:                              ;   in Loop: Header=BB4_505 Depth=2
	v_and_b32_e32 v10, 0x7f, v40
	v_cmp_ne_u32_e32 vcc, s39, v10
	v_mov_b32_e32 v9, 0x7f800001
	s_and_saveexec_b64 s[76:77], vcc
	s_cbranch_execz .LBB4_546
; %bb.545:                              ;   in Loop: Header=BB4_505 Depth=2
	v_and_b32_e32 v9, 7, v40
	v_ffbh_u32_e32 v9, v9
	v_min_u32_e32 v9, 32, v9
	v_lshrrev_b32_e32 v11, 3, v10
	v_cmp_gt_u32_e32 vcc, 8, v10
	v_subrev_u32_e32 v10, 28, v9
	v_sub_u32_e32 v9, 29, v9
	v_cndmask_b32_e32 v11, v11, v9, vcc
	v_cndmask_b32_e32 v9, 0, v10, vcc
	v_lshlrev_b64 v[9:10], v9, v[40:41]
	v_lshlrev_b32_e32 v10, 24, v40
	v_lshlrev_b32_e32 v9, 20, v9
	v_and_b32_e32 v9, 0x700000, v9
	v_and_b32_e32 v10, 0x80000000, v10
	v_lshl_add_u32 v11, v11, 23, v26
	v_or3_b32 v9, v10, v11, v9
.LBB4_546:                              ;   in Loop: Header=BB4_505 Depth=2
	s_or_b64 exec, exec, s[76:77]
.LBB4_547:                              ;   in Loop: Header=BB4_505 Depth=2
	s_or_b64 exec, exec, s[74:75]
.LBB4_548:                              ;   in Loop: Header=BB4_505 Depth=2
	s_or_b64 exec, exec, s[18:19]
	v_max_f32_e32 v9, v9, v9
	v_max_f32_e32 v0, v0, v0
	v_min_f32_e32 v10, v0, v9
.LBB4_549:                              ;   in Loop: Header=BB4_505 Depth=2
	s_or_b64 exec, exec, s[72:73]
	v_and_b32_e32 v27, 0x7f800000, v10
	v_mov_b32_e32 v28, v41
	v_cmp_ne_u64_e32 vcc, s[56:57], v[27:28]
                                        ; implicit-def: $vgpr9
	s_and_saveexec_b64 s[18:19], vcc
	s_xor_b64 s[72:73], exec, s[18:19]
	s_cbranch_execz .LBB4_563
; %bb.550:                              ;   in Loop: Header=BB4_505 Depth=2
	v_and_b32_e32 v27, 0x7fffffff, v10
	v_mov_b32_e32 v28, v41
	v_cmp_gt_u64_e32 vcc, s[58:59], v[27:28]
	v_and_b32_sdwa v0, v10, s38 dst_sel:DWORD dst_unused:UNUSED_PAD src0_sel:BYTE_3 src1_sel:DWORD
                                        ; implicit-def: $vgpr9
	s_and_saveexec_b64 s[18:19], vcc
	s_xor_b64 s[74:75], exec, s[18:19]
	s_cbranch_execz .LBB4_560
; %bb.551:                              ;   in Loop: Header=BB4_505 Depth=2
	v_mov_b32_e32 v9, 0
	v_cmp_ne_u32_e32 vcc, 0, v10
	s_and_saveexec_b64 s[76:77], vcc
	s_cbranch_execz .LBB4_559
; %bb.552:                              ;   in Loop: Header=BB4_505 Depth=2
	v_bfe_u32 v9, v10, 23, 8
	v_and_b32_e32 v11, 0x7fffff, v10
	v_cmp_gt_u32_e64 s[18:19], s48, v9
	v_sub_u32_e32 v10, 0x79, v9
	v_cmp_eq_u32_e32 vcc, 0, v9
	v_cndmask_b32_e64 v10, 0, v10, s[18:19]
	v_or_b32_e32 v18, 0x800000, v11
	v_cndmask_b32_e32 v10, v10, v7, vcc
	v_cndmask_b32_e32 v27, v18, v11, vcc
	v_add_u32_e32 v11, 20, v10
	v_lshlrev_b64 v[29:30], v11, -1
	v_mov_b32_e32 v28, v41
	v_add_u32_e32 v11, 19, v10
	v_bfi_b32 v29, v29, 0, v27
	v_lshlrev_b64 v[44:45], v11, 1
	v_lshrrev_b64 v[27:28], v10, v[27:28]
	v_bfi_b32 v30, v30, 0, 0
	v_cmp_eq_u64_e64 s[18:19], v[29:30], v[44:45]
	v_mov_b32_e32 v29, v28
	v_mov_b32_e32 v28, v27
	s_and_saveexec_b64 s[78:79], s[18:19]
; %bb.553:                              ;   in Loop: Header=BB4_505 Depth=2
	v_bfe_u32 v11, v27, 20, 1
	v_add_co_u32_e64 v11, s[18:19], v27, v11
	v_add_co_u32_e64 v28, s[18:19], -1, v11
; %bb.554:                              ;   in Loop: Header=BB4_505 Depth=2
	s_or_b64 exec, exec, s[78:79]
	v_add_u32_e32 v9, 0xffffff81, v9
	v_cndmask_b32_e32 v9, v9, v8, vcc
	v_lshrrev_b32_e32 v11, 23, v27
	v_add3_u32 v11, v10, v9, v11
	v_add_u32_e32 v10, 6, v11
	v_and_b32_e32 v9, 0xfffff, v28
	v_add_u32_e32 v27, v9, v27
	v_mov_b32_e32 v28, v41
	v_cmp_ne_u32_e32 vcc, 0, v10
                                        ; implicit-def: $vgpr9
	s_and_saveexec_b64 s[18:19], vcc
	s_xor_b64 s[18:19], exec, s[18:19]
; %bb.555:                              ;   in Loop: Header=BB4_505 Depth=2
	v_cmp_lt_u64_e32 vcc, s[60:61], v[27:28]
	v_add_u32_e32 v9, 7, v11
	v_cndmask_b32_e32 v9, v10, v9, vcc
	v_cndmask_b32_e64 v10, 0, 1, vcc
	v_lshrrev_b64 v[27:28], v10, v[27:28]
; %bb.556:                              ;   in Loop: Header=BB4_505 Depth=2
	s_andn2_saveexec_b64 s[18:19], s[18:19]
; %bb.557:                              ;   in Loop: Header=BB4_505 Depth=2
	v_bfe_u32 v9, v27, 23, 1
; %bb.558:                              ;   in Loop: Header=BB4_505 Depth=2
	s_or_b64 exec, exec, s[18:19]
	v_lshrrev_b64 v[10:11], 20, v[27:28]
	v_cmp_gt_i32_e32 vcc, 16, v9
	v_cndmask_b32_e32 v11, 0, v11, vcc
	v_cndmask_b32_e32 v10, 7, v10, vcc
	v_cmp_eq_u32_e32 vcc, 0, v9
	v_min_i32_e32 v9, 15, v9
	v_cmp_eq_u64_e64 s[18:19], 0, v[10:11]
	v_lshlrev_b32_e32 v9, 3, v9
	v_and_b32_e32 v9, 0xf8, v9
	v_and_or_b32 v9, v10, 7, v9
	s_and_b64 s[18:19], vcc, s[18:19]
	v_cndmask_b32_e64 v9, v9, 0, s[18:19]
	v_or_b32_e32 v9, v9, v0
.LBB4_559:                              ;   in Loop: Header=BB4_505 Depth=2
	s_or_b64 exec, exec, s[76:77]
                                        ; implicit-def: $vgpr0
.LBB4_560:                              ;   in Loop: Header=BB4_505 Depth=2
	s_andn2_saveexec_b64 s[18:19], s[74:75]
; %bb.561:                              ;   in Loop: Header=BB4_505 Depth=2
	v_or_b32_e32 v9, 0x7e, v0
; %bb.562:                              ;   in Loop: Header=BB4_505 Depth=2
	s_or_b64 exec, exec, s[18:19]
                                        ; implicit-def: $vgpr10
.LBB4_563:                              ;   in Loop: Header=BB4_505 Depth=2
	s_andn2_saveexec_b64 s[18:19], s[72:73]
; %bb.564:                              ;   in Loop: Header=BB4_505 Depth=2
	v_or_b32_sdwa v9, v10, s39 dst_sel:DWORD dst_unused:UNUSED_PAD src0_sel:BYTE_3 src1_sel:DWORD
; %bb.565:                              ;   in Loop: Header=BB4_505 Depth=2
	s_or_b64 exec, exec, s[18:19]
	v_lshrrev_b16_e32 v18, 8, v17
	v_lshrrev_b16_e32 v0, 8, v40
	v_cmp_ne_u16_e32 vcc, 0, v18
                                        ; implicit-def: $vgpr11
	s_and_saveexec_b64 s[18:19], s[14:15]
	s_xor_b64 s[72:73], exec, s[18:19]
	s_cbranch_execz .LBB4_579
; %bb.566:                              ;   in Loop: Header=BB4_505 Depth=2
	v_mov_b32_e32 v11, 0
	v_mov_b32_e32 v10, 0
	s_and_saveexec_b64 s[74:75], vcc
	s_cbranch_execz .LBB4_572
; %bb.567:                              ;   in Loop: Header=BB4_505 Depth=2
	v_cmp_ne_u16_e64 s[18:19], s38, v18
	v_bfrev_b32_e32 v10, 1
	s_and_saveexec_b64 s[76:77], s[18:19]
	s_cbranch_execz .LBB4_571
; %bb.568:                              ;   in Loop: Header=BB4_505 Depth=2
	v_and_b32_e32 v27, 0x7f, v18
	v_cmp_ne_u32_e64 s[18:19], s39, v27
	v_mov_b32_e32 v10, 0x7f800001
	s_and_saveexec_b64 s[78:79], s[18:19]
	s_cbranch_execz .LBB4_570
; %bb.569:                              ;   in Loop: Header=BB4_505 Depth=2
	v_and_b32_e32 v10, 7, v18
	v_lshrrev_b32_e32 v29, 3, v27
	v_cmp_gt_u32_e64 s[18:19], 8, v27
	v_ffbh_u32_e32 v27, v10
	v_min_u32_e32 v30, 32, v27
	v_subrev_u32_e32 v27, 28, v30
	v_lshlrev_b64 v[27:28], v27, v[18:19]
	v_sub_u32_e32 v18, 29, v30
	v_and_b32_e32 v27, 7, v27
	v_cndmask_b32_e64 v18, v29, v18, s[18:19]
	v_cndmask_b32_e64 v10, v10, v27, s[18:19]
	v_lshlrev_b32_e32 v27, 16, v17
	v_lshlrev_b32_e32 v10, 20, v10
	v_and_b32_e32 v27, 0x80000000, v27
	v_lshl_add_u32 v18, v18, 23, v26
	v_or3_b32 v10, v27, v18, v10
.LBB4_570:                              ;   in Loop: Header=BB4_505 Depth=2
	s_or_b64 exec, exec, s[78:79]
.LBB4_571:                              ;   in Loop: Header=BB4_505 Depth=2
	s_or_b64 exec, exec, s[76:77]
.LBB4_572:                              ;   in Loop: Header=BB4_505 Depth=2
	s_or_b64 exec, exec, s[74:75]
	v_cmp_ne_u16_e64 s[18:19], 0, v0
	s_and_saveexec_b64 s[74:75], s[18:19]
	s_cbranch_execz .LBB4_578
; %bb.573:                              ;   in Loop: Header=BB4_505 Depth=2
	v_cmp_ne_u16_e64 s[18:19], s38, v0
	v_bfrev_b32_e32 v11, 1
	s_and_saveexec_b64 s[76:77], s[18:19]
	s_cbranch_execz .LBB4_577
; %bb.574:                              ;   in Loop: Header=BB4_505 Depth=2
	v_and_b32_e32 v18, 0x7f, v0
	v_cmp_ne_u32_e64 s[18:19], s39, v18
	v_mov_b32_e32 v11, 0x7f800001
	s_and_saveexec_b64 s[78:79], s[18:19]
	s_cbranch_execz .LBB4_576
; %bb.575:                              ;   in Loop: Header=BB4_505 Depth=2
	v_and_b32_e32 v11, 7, v0
	v_lshrrev_b32_e32 v29, 3, v18
	v_cmp_gt_u32_e64 s[18:19], 8, v18
	v_ffbh_u32_e32 v18, v11
	v_min_u32_e32 v18, 32, v18
	v_subrev_u32_e32 v27, 28, v18
	v_lshlrev_b64 v[27:28], v27, v[0:1]
	v_sub_u32_e32 v0, 29, v18
	v_and_b32_e32 v18, 7, v27
	v_cndmask_b32_e64 v0, v29, v0, s[18:19]
	v_cndmask_b32_e64 v11, v11, v18, s[18:19]
	v_lshlrev_b32_e32 v18, 16, v40
	v_lshlrev_b32_e32 v11, 20, v11
	v_and_b32_e32 v18, 0x80000000, v18
	v_lshl_add_u32 v0, v0, 23, v26
	v_or3_b32 v11, v18, v0, v11
.LBB4_576:                              ;   in Loop: Header=BB4_505 Depth=2
	s_or_b64 exec, exec, s[78:79]
.LBB4_577:                              ;   in Loop: Header=BB4_505 Depth=2
	s_or_b64 exec, exec, s[76:77]
.LBB4_578:                              ;   in Loop: Header=BB4_505 Depth=2
	s_or_b64 exec, exec, s[74:75]
	v_max_f32_e32 v0, v11, v11
	v_max_f32_e32 v10, v10, v10
	v_max_f32_e32 v11, v10, v0
                                        ; implicit-def: $vgpr0
                                        ; implicit-def: $vgpr18
.LBB4_579:                              ;   in Loop: Header=BB4_505 Depth=2
	s_andn2_saveexec_b64 s[18:19], s[72:73]
	s_cbranch_execz .LBB4_593
; %bb.580:                              ;   in Loop: Header=BB4_505 Depth=2
	v_mov_b32_e32 v11, 0
	v_mov_b32_e32 v10, 0
	s_and_saveexec_b64 s[72:73], vcc
	s_cbranch_execz .LBB4_586
; %bb.581:                              ;   in Loop: Header=BB4_505 Depth=2
	v_cmp_ne_u16_e32 vcc, s38, v18
	v_bfrev_b32_e32 v10, 1
	s_and_saveexec_b64 s[74:75], vcc
	s_cbranch_execz .LBB4_585
; %bb.582:                              ;   in Loop: Header=BB4_505 Depth=2
	v_and_b32_e32 v27, 0x7f, v18
	v_cmp_ne_u32_e32 vcc, s39, v27
	v_mov_b32_e32 v10, 0x7f800001
	s_and_saveexec_b64 s[76:77], vcc
	s_cbranch_execz .LBB4_584
; %bb.583:                              ;   in Loop: Header=BB4_505 Depth=2
	v_and_b32_e32 v10, 7, v18
	v_lshrrev_b32_e32 v29, 3, v27
	v_cmp_gt_u32_e32 vcc, 8, v27
	v_ffbh_u32_e32 v27, v10
	v_min_u32_e32 v30, 32, v27
	v_subrev_u32_e32 v27, 28, v30
	v_lshlrev_b64 v[27:28], v27, v[18:19]
	v_sub_u32_e32 v18, 29, v30
	v_and_b32_e32 v27, 7, v27
	v_cndmask_b32_e32 v18, v29, v18, vcc
	v_cndmask_b32_e32 v10, v10, v27, vcc
	v_lshlrev_b32_e32 v27, 16, v17
	v_lshlrev_b32_e32 v10, 20, v10
	v_and_b32_e32 v27, 0x80000000, v27
	v_lshl_add_u32 v18, v18, 23, v26
	v_or3_b32 v10, v27, v18, v10
.LBB4_584:                              ;   in Loop: Header=BB4_505 Depth=2
	s_or_b64 exec, exec, s[76:77]
.LBB4_585:                              ;   in Loop: Header=BB4_505 Depth=2
	s_or_b64 exec, exec, s[74:75]
.LBB4_586:                              ;   in Loop: Header=BB4_505 Depth=2
	s_or_b64 exec, exec, s[72:73]
	v_cmp_ne_u16_e32 vcc, 0, v0
	s_and_saveexec_b64 s[72:73], vcc
	s_cbranch_execz .LBB4_592
; %bb.587:                              ;   in Loop: Header=BB4_505 Depth=2
	v_cmp_ne_u16_e32 vcc, s38, v0
	v_bfrev_b32_e32 v11, 1
	s_and_saveexec_b64 s[74:75], vcc
	s_cbranch_execz .LBB4_591
; %bb.588:                              ;   in Loop: Header=BB4_505 Depth=2
	v_and_b32_e32 v18, 0x7f, v0
	v_cmp_ne_u32_e32 vcc, s39, v18
	v_mov_b32_e32 v11, 0x7f800001
	s_and_saveexec_b64 s[76:77], vcc
	s_cbranch_execz .LBB4_590
; %bb.589:                              ;   in Loop: Header=BB4_505 Depth=2
	v_and_b32_e32 v11, 7, v0
	v_lshrrev_b32_e32 v29, 3, v18
	v_cmp_gt_u32_e32 vcc, 8, v18
	v_ffbh_u32_e32 v18, v11
	v_min_u32_e32 v18, 32, v18
	v_subrev_u32_e32 v27, 28, v18
	v_lshlrev_b64 v[27:28], v27, v[0:1]
	v_sub_u32_e32 v0, 29, v18
	v_and_b32_e32 v18, 7, v27
	v_cndmask_b32_e32 v0, v29, v0, vcc
	v_cndmask_b32_e32 v11, v11, v18, vcc
	v_lshlrev_b32_e32 v18, 16, v40
	v_lshlrev_b32_e32 v11, 20, v11
	v_and_b32_e32 v18, 0x80000000, v18
	v_lshl_add_u32 v0, v0, 23, v26
	v_or3_b32 v11, v18, v0, v11
.LBB4_590:                              ;   in Loop: Header=BB4_505 Depth=2
	s_or_b64 exec, exec, s[76:77]
.LBB4_591:                              ;   in Loop: Header=BB4_505 Depth=2
	s_or_b64 exec, exec, s[74:75]
.LBB4_592:                              ;   in Loop: Header=BB4_505 Depth=2
	s_or_b64 exec, exec, s[72:73]
	v_max_f32_e32 v0, v11, v11
	v_max_f32_e32 v10, v10, v10
	v_min_f32_e32 v11, v10, v0
.LBB4_593:                              ;   in Loop: Header=BB4_505 Depth=2
	s_or_b64 exec, exec, s[18:19]
	v_and_b32_e32 v27, 0x7f800000, v11
	v_mov_b32_e32 v28, v41
	v_cmp_ne_u64_e32 vcc, s[56:57], v[27:28]
                                        ; implicit-def: $vgpr10
	s_and_saveexec_b64 s[18:19], vcc
	s_xor_b64 s[72:73], exec, s[18:19]
	s_cbranch_execz .LBB4_607
; %bb.594:                              ;   in Loop: Header=BB4_505 Depth=2
	v_and_b32_e32 v27, 0x7fffffff, v11
	v_mov_b32_e32 v28, v41
	v_cmp_gt_u64_e32 vcc, s[58:59], v[27:28]
	v_and_b32_sdwa v0, v11, s38 dst_sel:DWORD dst_unused:UNUSED_PAD src0_sel:BYTE_3 src1_sel:DWORD
                                        ; implicit-def: $vgpr10
	s_and_saveexec_b64 s[18:19], vcc
	s_xor_b64 s[74:75], exec, s[18:19]
	s_cbranch_execz .LBB4_604
; %bb.595:                              ;   in Loop: Header=BB4_505 Depth=2
	v_mov_b32_e32 v10, 0
	v_cmp_ne_u32_e32 vcc, 0, v11
	s_and_saveexec_b64 s[76:77], vcc
	s_cbranch_execz .LBB4_603
; %bb.596:                              ;   in Loop: Header=BB4_505 Depth=2
	v_bfe_u32 v10, v11, 23, 8
	v_and_b32_e32 v18, 0x7fffff, v11
	v_cmp_gt_u32_e64 s[18:19], s48, v10
	v_sub_u32_e32 v11, 0x79, v10
	v_cmp_eq_u32_e32 vcc, 0, v10
	v_cndmask_b32_e64 v11, 0, v11, s[18:19]
	v_or_b32_e32 v27, 0x800000, v18
	v_cndmask_b32_e32 v11, v11, v7, vcc
	v_cndmask_b32_e32 v27, v27, v18, vcc
	v_add_u32_e32 v18, 20, v11
	v_lshlrev_b64 v[29:30], v18, -1
	v_mov_b32_e32 v28, v41
	v_add_u32_e32 v18, 19, v11
	v_bfi_b32 v29, v29, 0, v27
	v_lshlrev_b64 v[44:45], v18, 1
	v_lshrrev_b64 v[27:28], v11, v[27:28]
	v_bfi_b32 v30, v30, 0, 0
	v_cmp_eq_u64_e64 s[18:19], v[29:30], v[44:45]
	v_mov_b32_e32 v29, v28
	v_mov_b32_e32 v28, v27
	s_and_saveexec_b64 s[78:79], s[18:19]
; %bb.597:                              ;   in Loop: Header=BB4_505 Depth=2
	v_bfe_u32 v18, v27, 20, 1
	v_add_co_u32_e64 v18, s[18:19], v27, v18
	v_add_co_u32_e64 v28, s[18:19], -1, v18
; %bb.598:                              ;   in Loop: Header=BB4_505 Depth=2
	s_or_b64 exec, exec, s[78:79]
	v_add_u32_e32 v10, 0xffffff81, v10
	v_cndmask_b32_e32 v10, v10, v8, vcc
	v_lshrrev_b32_e32 v18, 23, v27
	v_add3_u32 v18, v11, v10, v18
	v_add_u32_e32 v11, 6, v18
	v_and_b32_e32 v10, 0xfffff, v28
	v_add_u32_e32 v27, v10, v27
	v_mov_b32_e32 v28, v41
	v_cmp_ne_u32_e32 vcc, 0, v11
                                        ; implicit-def: $vgpr10
	s_and_saveexec_b64 s[18:19], vcc
	s_xor_b64 s[18:19], exec, s[18:19]
; %bb.599:                              ;   in Loop: Header=BB4_505 Depth=2
	v_cmp_lt_u64_e32 vcc, s[60:61], v[27:28]
	v_add_u32_e32 v10, 7, v18
	v_cndmask_b32_e32 v10, v11, v10, vcc
	v_cndmask_b32_e64 v11, 0, 1, vcc
	v_lshrrev_b64 v[27:28], v11, v[27:28]
; %bb.600:                              ;   in Loop: Header=BB4_505 Depth=2
	s_andn2_saveexec_b64 s[18:19], s[18:19]
; %bb.601:                              ;   in Loop: Header=BB4_505 Depth=2
	v_bfe_u32 v10, v27, 23, 1
; %bb.602:                              ;   in Loop: Header=BB4_505 Depth=2
	s_or_b64 exec, exec, s[18:19]
	v_lshrrev_b64 v[27:28], 20, v[27:28]
	v_cmp_gt_i32_e32 vcc, 16, v10
	v_cndmask_b32_e32 v28, 0, v28, vcc
	v_cndmask_b32_e32 v27, 7, v27, vcc
	v_cmp_eq_u32_e32 vcc, 0, v10
	v_min_i32_e32 v10, 15, v10
	v_cmp_eq_u64_e64 s[18:19], 0, v[27:28]
	v_lshlrev_b32_e32 v10, 3, v10
	v_and_b32_e32 v10, 0xf8, v10
	v_and_or_b32 v10, v27, 7, v10
	s_and_b64 s[18:19], vcc, s[18:19]
	v_cndmask_b32_e64 v10, v10, 0, s[18:19]
	v_or_b32_e32 v10, v10, v0
.LBB4_603:                              ;   in Loop: Header=BB4_505 Depth=2
	s_or_b64 exec, exec, s[76:77]
                                        ; implicit-def: $vgpr0
.LBB4_604:                              ;   in Loop: Header=BB4_505 Depth=2
	s_andn2_saveexec_b64 s[18:19], s[74:75]
; %bb.605:                              ;   in Loop: Header=BB4_505 Depth=2
	v_or_b32_e32 v10, 0x7e, v0
; %bb.606:                              ;   in Loop: Header=BB4_505 Depth=2
	s_or_b64 exec, exec, s[18:19]
                                        ; implicit-def: $vgpr11
.LBB4_607:                              ;   in Loop: Header=BB4_505 Depth=2
	s_andn2_saveexec_b64 s[18:19], s[72:73]
; %bb.608:                              ;   in Loop: Header=BB4_505 Depth=2
	v_or_b32_sdwa v10, v11, s39 dst_sel:DWORD dst_unused:UNUSED_PAD src0_sel:BYTE_3 src1_sel:DWORD
; %bb.609:                              ;   in Loop: Header=BB4_505 Depth=2
	s_or_b64 exec, exec, s[18:19]
	v_lshrrev_b32_e32 v18, 16, v17
	v_lshrrev_b32_e32 v0, 16, v40
	v_cmp_ne_u16_sdwa s[18:19], v18, v41 src0_sel:BYTE_0 src1_sel:DWORD
                                        ; implicit-def: $vgpr27
	s_and_saveexec_b64 s[72:73], s[14:15]
	s_xor_b64 s[72:73], exec, s[72:73]
	s_cbranch_execz .LBB4_623
; %bb.610:                              ;   in Loop: Header=BB4_505 Depth=2
	v_mov_b32_e32 v27, 0
	v_mov_b32_e32 v11, 0
	s_and_saveexec_b64 s[74:75], s[18:19]
	s_cbranch_execz .LBB4_616
; %bb.611:                              ;   in Loop: Header=BB4_505 Depth=2
	v_cmp_ne_u16_sdwa s[78:79], v18, s38 src0_sel:BYTE_0 src1_sel:DWORD
	v_bfrev_b32_e32 v11, 1
	s_and_saveexec_b64 s[76:77], s[78:79]
	s_cbranch_execz .LBB4_615
; %bb.612:                              ;   in Loop: Header=BB4_505 Depth=2
	v_bfe_u32 v28, v17, 16, 7
	v_cmp_ne_u32_e32 vcc, s39, v28
	v_mov_b32_e32 v11, 0x7f800001
	s_and_saveexec_b64 s[78:79], vcc
	s_cbranch_execz .LBB4_614
; %bb.613:                              ;   in Loop: Header=BB4_505 Depth=2
	v_and_b32_e32 v11, 7, v18
	v_lshrrev_b32_e32 v30, 3, v28
	v_cmp_gt_u32_e32 vcc, 8, v28
	v_ffbh_u32_e32 v28, v11
	v_min_u32_e32 v33, 32, v28
	v_subrev_u32_e32 v28, 28, v33
	v_lshlrev_b64 v[28:29], v28, v[18:19]
	v_sub_u32_e32 v29, 29, v33
	v_and_b32_e32 v28, 7, v28
	v_cndmask_b32_e32 v29, v30, v29, vcc
	v_cndmask_b32_e32 v11, v11, v28, vcc
	v_lshlrev_b32_e32 v18, 24, v18
	v_lshlrev_b32_e32 v11, 20, v11
	v_and_b32_e32 v18, 0x80000000, v18
	v_lshl_add_u32 v28, v29, 23, v26
	v_or3_b32 v11, v18, v28, v11
.LBB4_614:                              ;   in Loop: Header=BB4_505 Depth=2
	s_or_b64 exec, exec, s[78:79]
.LBB4_615:                              ;   in Loop: Header=BB4_505 Depth=2
	s_or_b64 exec, exec, s[76:77]
.LBB4_616:                              ;   in Loop: Header=BB4_505 Depth=2
	s_or_b64 exec, exec, s[74:75]
	v_and_b32_sdwa v18, v40, s37 dst_sel:DWORD dst_unused:UNUSED_PAD src0_sel:WORD_1 src1_sel:DWORD
	v_cmp_ne_u16_e32 vcc, 0, v18
	s_and_saveexec_b64 s[74:75], vcc
	s_cbranch_execz .LBB4_622
; %bb.617:                              ;   in Loop: Header=BB4_505 Depth=2
	v_cmp_ne_u16_e32 vcc, s38, v18
	v_bfrev_b32_e32 v27, 1
	s_and_saveexec_b64 s[76:77], vcc
	s_cbranch_execz .LBB4_621
; %bb.618:                              ;   in Loop: Header=BB4_505 Depth=2
	v_bfe_u32 v18, v40, 16, 7
	v_cmp_ne_u32_e32 vcc, s39, v18
	v_mov_b32_e32 v27, 0x7f800001
	s_and_saveexec_b64 s[78:79], vcc
	s_cbranch_execz .LBB4_620
; %bb.619:                              ;   in Loop: Header=BB4_505 Depth=2
	v_and_b32_e32 v29, 7, v0
	v_lshrrev_b32_e32 v30, 3, v18
	v_cmp_gt_u32_e32 vcc, 8, v18
	v_ffbh_u32_e32 v18, v29
	v_min_u32_e32 v18, 32, v18
	v_subrev_u32_e32 v27, 28, v18
	v_lshlrev_b64 v[27:28], v27, v[0:1]
	v_sub_u32_e32 v0, 29, v18
	v_and_b32_e32 v18, 7, v27
	v_cndmask_b32_e32 v0, v30, v0, vcc
	v_cndmask_b32_e32 v18, v29, v18, vcc
	v_lshlrev_b32_sdwa v27, v54, v40 dst_sel:DWORD dst_unused:UNUSED_PAD src0_sel:DWORD src1_sel:WORD_1
	v_lshlrev_b32_e32 v18, 20, v18
	v_and_b32_e32 v27, 0x80000000, v27
	v_lshl_add_u32 v0, v0, 23, v26
	v_or3_b32 v27, v27, v0, v18
.LBB4_620:                              ;   in Loop: Header=BB4_505 Depth=2
	s_or_b64 exec, exec, s[78:79]
.LBB4_621:                              ;   in Loop: Header=BB4_505 Depth=2
	s_or_b64 exec, exec, s[76:77]
.LBB4_622:                              ;   in Loop: Header=BB4_505 Depth=2
	s_or_b64 exec, exec, s[74:75]
	v_max_f32_e32 v0, v27, v27
	v_max_f32_e32 v11, v11, v11
	v_max_f32_e32 v27, v11, v0
                                        ; implicit-def: $vgpr18
                                        ; implicit-def: $vgpr0
.LBB4_623:                              ;   in Loop: Header=BB4_505 Depth=2
	s_andn2_saveexec_b64 s[72:73], s[72:73]
	s_cbranch_execz .LBB4_637
; %bb.624:                              ;   in Loop: Header=BB4_505 Depth=2
	v_mov_b32_e32 v27, 0
	v_mov_b32_e32 v11, 0
	s_and_saveexec_b64 s[74:75], s[18:19]
	s_cbranch_execz .LBB4_630
; %bb.625:                              ;   in Loop: Header=BB4_505 Depth=2
	v_cmp_ne_u16_sdwa s[76:77], v18, s38 src0_sel:BYTE_0 src1_sel:DWORD
	v_bfrev_b32_e32 v11, 1
	s_and_saveexec_b64 s[18:19], s[76:77]
	s_cbranch_execz .LBB4_629
; %bb.626:                              ;   in Loop: Header=BB4_505 Depth=2
	v_bfe_u32 v28, v17, 16, 7
	v_cmp_ne_u32_e32 vcc, s39, v28
	v_mov_b32_e32 v11, 0x7f800001
	s_and_saveexec_b64 s[76:77], vcc
	s_cbranch_execz .LBB4_628
; %bb.627:                              ;   in Loop: Header=BB4_505 Depth=2
	v_and_b32_e32 v11, 7, v18
	v_lshrrev_b32_e32 v30, 3, v28
	v_cmp_gt_u32_e32 vcc, 8, v28
	v_ffbh_u32_e32 v28, v11
	v_min_u32_e32 v33, 32, v28
	v_subrev_u32_e32 v28, 28, v33
	v_lshlrev_b64 v[28:29], v28, v[18:19]
	v_sub_u32_e32 v29, 29, v33
	v_and_b32_e32 v28, 7, v28
	v_cndmask_b32_e32 v29, v30, v29, vcc
	v_cndmask_b32_e32 v11, v11, v28, vcc
	v_lshlrev_b32_e32 v18, 24, v18
	v_lshlrev_b32_e32 v11, 20, v11
	v_and_b32_e32 v18, 0x80000000, v18
	v_lshl_add_u32 v28, v29, 23, v26
	v_or3_b32 v11, v18, v28, v11
.LBB4_628:                              ;   in Loop: Header=BB4_505 Depth=2
	s_or_b64 exec, exec, s[76:77]
.LBB4_629:                              ;   in Loop: Header=BB4_505 Depth=2
	s_or_b64 exec, exec, s[18:19]
.LBB4_630:                              ;   in Loop: Header=BB4_505 Depth=2
	s_or_b64 exec, exec, s[74:75]
	v_and_b32_sdwa v18, v40, s37 dst_sel:DWORD dst_unused:UNUSED_PAD src0_sel:WORD_1 src1_sel:DWORD
	v_cmp_ne_u16_e32 vcc, 0, v18
	s_and_saveexec_b64 s[18:19], vcc
	s_cbranch_execz .LBB4_636
; %bb.631:                              ;   in Loop: Header=BB4_505 Depth=2
	v_cmp_ne_u16_e32 vcc, s38, v18
	v_bfrev_b32_e32 v27, 1
	s_and_saveexec_b64 s[74:75], vcc
	s_cbranch_execz .LBB4_635
; %bb.632:                              ;   in Loop: Header=BB4_505 Depth=2
	v_bfe_u32 v18, v40, 16, 7
	v_cmp_ne_u32_e32 vcc, s39, v18
	v_mov_b32_e32 v27, 0x7f800001
	s_and_saveexec_b64 s[76:77], vcc
	s_cbranch_execz .LBB4_634
; %bb.633:                              ;   in Loop: Header=BB4_505 Depth=2
	v_and_b32_e32 v29, 7, v0
	v_lshrrev_b32_e32 v30, 3, v18
	v_cmp_gt_u32_e32 vcc, 8, v18
	v_ffbh_u32_e32 v18, v29
	v_min_u32_e32 v18, 32, v18
	v_subrev_u32_e32 v27, 28, v18
	v_lshlrev_b64 v[27:28], v27, v[0:1]
	v_sub_u32_e32 v0, 29, v18
	v_and_b32_e32 v18, 7, v27
	v_cndmask_b32_e32 v0, v30, v0, vcc
	v_cndmask_b32_e32 v18, v29, v18, vcc
	v_lshlrev_b32_sdwa v27, v54, v40 dst_sel:DWORD dst_unused:UNUSED_PAD src0_sel:DWORD src1_sel:WORD_1
	v_lshlrev_b32_e32 v18, 20, v18
	v_and_b32_e32 v27, 0x80000000, v27
	v_lshl_add_u32 v0, v0, 23, v26
	v_or3_b32 v27, v27, v0, v18
.LBB4_634:                              ;   in Loop: Header=BB4_505 Depth=2
	s_or_b64 exec, exec, s[76:77]
.LBB4_635:                              ;   in Loop: Header=BB4_505 Depth=2
	s_or_b64 exec, exec, s[74:75]
.LBB4_636:                              ;   in Loop: Header=BB4_505 Depth=2
	s_or_b64 exec, exec, s[18:19]
	v_max_f32_e32 v0, v27, v27
	v_max_f32_e32 v11, v11, v11
	v_min_f32_e32 v27, v11, v0
.LBB4_637:                              ;   in Loop: Header=BB4_505 Depth=2
	s_or_b64 exec, exec, s[72:73]
	v_and_b32_e32 v28, 0x7f800000, v27
	v_mov_b32_e32 v29, v41
	v_cmp_ne_u64_e32 vcc, s[56:57], v[28:29]
                                        ; implicit-def: $vgpr11
	s_and_saveexec_b64 s[18:19], vcc
	s_xor_b64 s[72:73], exec, s[18:19]
	s_cbranch_execz .LBB4_651
; %bb.638:                              ;   in Loop: Header=BB4_505 Depth=2
	v_and_b32_e32 v28, 0x7fffffff, v27
	v_mov_b32_e32 v29, v41
	v_cmp_gt_u64_e32 vcc, s[58:59], v[28:29]
	v_and_b32_sdwa v0, v27, s38 dst_sel:DWORD dst_unused:UNUSED_PAD src0_sel:BYTE_3 src1_sel:DWORD
                                        ; implicit-def: $vgpr11
	s_and_saveexec_b64 s[18:19], vcc
	s_xor_b64 s[74:75], exec, s[18:19]
	s_cbranch_execz .LBB4_648
; %bb.639:                              ;   in Loop: Header=BB4_505 Depth=2
	v_mov_b32_e32 v11, 0
	v_cmp_ne_u32_e32 vcc, 0, v27
	s_and_saveexec_b64 s[76:77], vcc
	s_cbranch_execz .LBB4_647
; %bb.640:                              ;   in Loop: Header=BB4_505 Depth=2
	v_bfe_u32 v11, v27, 23, 8
	v_cmp_gt_u32_e64 s[18:19], s48, v11
	v_sub_u32_e32 v18, 0x79, v11
	v_cmp_eq_u32_e32 vcc, 0, v11
	v_cndmask_b32_e64 v18, 0, v18, s[18:19]
	v_cndmask_b32_e32 v18, v18, v7, vcc
	v_and_b32_e32 v28, 0x7fffff, v27
	v_add_u32_e32 v29, 20, v18
	v_or_b32_e32 v27, 0x800000, v28
	v_lshlrev_b64 v[29:30], v29, -1
	v_cndmask_b32_e32 v27, v27, v28, vcc
	v_mov_b32_e32 v28, v41
	v_add_u32_e32 v33, 19, v18
	v_bfi_b32 v29, v29, 0, v27
	v_lshlrev_b64 v[44:45], v33, 1
	v_lshrrev_b64 v[27:28], v18, v[27:28]
	v_bfi_b32 v30, v30, 0, 0
	v_cmp_eq_u64_e64 s[18:19], v[29:30], v[44:45]
	v_mov_b32_e32 v29, v28
	v_mov_b32_e32 v28, v27
	s_and_saveexec_b64 s[78:79], s[18:19]
; %bb.641:                              ;   in Loop: Header=BB4_505 Depth=2
	v_bfe_u32 v28, v27, 20, 1
	v_add_co_u32_e64 v28, s[18:19], v27, v28
	v_add_co_u32_e64 v28, s[18:19], -1, v28
; %bb.642:                              ;   in Loop: Header=BB4_505 Depth=2
	s_or_b64 exec, exec, s[78:79]
	v_add_u32_e32 v11, 0xffffff81, v11
	v_cndmask_b32_e32 v11, v11, v8, vcc
	v_lshrrev_b32_e32 v29, 23, v27
	v_add3_u32 v29, v18, v11, v29
	v_add_u32_e32 v18, 6, v29
	v_and_b32_e32 v11, 0xfffff, v28
	v_add_u32_e32 v27, v11, v27
	v_mov_b32_e32 v28, v41
	v_cmp_ne_u32_e32 vcc, 0, v18
                                        ; implicit-def: $vgpr11
	s_and_saveexec_b64 s[18:19], vcc
	s_xor_b64 s[18:19], exec, s[18:19]
; %bb.643:                              ;   in Loop: Header=BB4_505 Depth=2
	v_cmp_lt_u64_e32 vcc, s[60:61], v[27:28]
	v_add_u32_e32 v11, 7, v29
	v_cndmask_b32_e32 v11, v18, v11, vcc
	v_cndmask_b32_e64 v18, 0, 1, vcc
	v_lshrrev_b64 v[27:28], v18, v[27:28]
; %bb.644:                              ;   in Loop: Header=BB4_505 Depth=2
	s_andn2_saveexec_b64 s[18:19], s[18:19]
; %bb.645:                              ;   in Loop: Header=BB4_505 Depth=2
	v_bfe_u32 v11, v27, 23, 1
; %bb.646:                              ;   in Loop: Header=BB4_505 Depth=2
	s_or_b64 exec, exec, s[18:19]
	v_lshrrev_b64 v[27:28], 20, v[27:28]
	v_cmp_gt_i32_e32 vcc, 16, v11
	v_cndmask_b32_e32 v28, 0, v28, vcc
	v_cndmask_b32_e32 v27, 7, v27, vcc
	v_cmp_eq_u32_e32 vcc, 0, v11
	v_min_i32_e32 v11, 15, v11
	v_cmp_eq_u64_e64 s[18:19], 0, v[27:28]
	v_lshlrev_b32_e32 v11, 3, v11
	v_and_b32_e32 v11, 0xf8, v11
	v_and_or_b32 v11, v27, 7, v11
	s_and_b64 s[18:19], vcc, s[18:19]
	v_cndmask_b32_e64 v11, v11, 0, s[18:19]
	v_or_b32_e32 v11, v11, v0
.LBB4_647:                              ;   in Loop: Header=BB4_505 Depth=2
	s_or_b64 exec, exec, s[76:77]
                                        ; implicit-def: $vgpr0
.LBB4_648:                              ;   in Loop: Header=BB4_505 Depth=2
	s_andn2_saveexec_b64 s[18:19], s[74:75]
; %bb.649:                              ;   in Loop: Header=BB4_505 Depth=2
	v_or_b32_e32 v11, 0x7e, v0
; %bb.650:                              ;   in Loop: Header=BB4_505 Depth=2
	s_or_b64 exec, exec, s[18:19]
                                        ; implicit-def: $vgpr27
.LBB4_651:                              ;   in Loop: Header=BB4_505 Depth=2
	s_andn2_saveexec_b64 s[18:19], s[72:73]
; %bb.652:                              ;   in Loop: Header=BB4_505 Depth=2
	v_or_b32_sdwa v11, v27, s39 dst_sel:DWORD dst_unused:UNUSED_PAD src0_sel:BYTE_3 src1_sel:DWORD
; %bb.653:                              ;   in Loop: Header=BB4_505 Depth=2
	s_or_b64 exec, exec, s[18:19]
	v_lshrrev_b32_e32 v18, 24, v17
	v_lshrrev_b32_e32 v0, 24, v40
	v_cmp_lt_u32_e32 vcc, s49, v17
                                        ; implicit-def: $vgpr27
	s_and_saveexec_b64 s[18:19], s[14:15]
	s_xor_b64 s[72:73], exec, s[18:19]
	s_cbranch_execz .LBB4_667
; %bb.654:                              ;   in Loop: Header=BB4_505 Depth=2
	v_mov_b32_e32 v28, 0
	v_mov_b32_e32 v27, 0
	s_and_saveexec_b64 s[74:75], vcc
	s_cbranch_execz .LBB4_660
; %bb.655:                              ;   in Loop: Header=BB4_505 Depth=2
	v_cmp_ne_u32_e64 s[18:19], s38, v18
	v_bfrev_b32_e32 v27, 1
	s_and_saveexec_b64 s[76:77], s[18:19]
	s_cbranch_execz .LBB4_659
; %bb.656:                              ;   in Loop: Header=BB4_505 Depth=2
	v_bfe_u32 v17, v17, 24, 7
	v_cmp_ne_u32_e64 s[18:19], s39, v17
	v_mov_b32_e32 v27, 0x7f800001
	s_and_saveexec_b64 s[78:79], s[18:19]
	s_cbranch_execz .LBB4_658
; %bb.657:                              ;   in Loop: Header=BB4_505 Depth=2
	v_and_b32_e32 v27, 7, v18
	v_lshrrev_b32_e32 v33, 3, v17
	v_cmp_gt_u32_e64 s[18:19], 8, v17
	v_ffbh_u32_e32 v17, v27
	v_min_u32_e32 v17, 32, v17
	v_subrev_u32_e32 v29, 28, v17
	v_lshlrev_b64 v[29:30], v29, v[18:19]
	v_sub_u32_e32 v17, 29, v17
	v_and_b32_e32 v29, 7, v29
	v_cndmask_b32_e64 v17, v33, v17, s[18:19]
	v_cndmask_b32_e64 v27, v27, v29, s[18:19]
	v_lshlrev_b32_e32 v18, 24, v18
	v_lshlrev_b32_e32 v27, 20, v27
	v_and_b32_e32 v18, 0x80000000, v18
	v_lshl_add_u32 v17, v17, 23, v26
	v_or3_b32 v27, v18, v17, v27
.LBB4_658:                              ;   in Loop: Header=BB4_505 Depth=2
	s_or_b64 exec, exec, s[78:79]
.LBB4_659:                              ;   in Loop: Header=BB4_505 Depth=2
	s_or_b64 exec, exec, s[76:77]
.LBB4_660:                              ;   in Loop: Header=BB4_505 Depth=2
	s_or_b64 exec, exec, s[74:75]
	v_cmp_lt_u32_e64 s[18:19], s49, v40
	s_and_saveexec_b64 s[74:75], s[18:19]
	s_cbranch_execz .LBB4_666
; %bb.661:                              ;   in Loop: Header=BB4_505 Depth=2
	v_cmp_ne_u32_sdwa s[18:19], v40, s38 src0_sel:BYTE_3 src1_sel:DWORD
	v_bfrev_b32_e32 v28, 1
	s_and_saveexec_b64 s[76:77], s[18:19]
	s_cbranch_execz .LBB4_665
; %bb.662:                              ;   in Loop: Header=BB4_505 Depth=2
	v_bfe_u32 v17, v40, 24, 7
	v_cmp_ne_u32_e64 s[18:19], s39, v17
	v_mov_b32_e32 v28, 0x7f800001
	s_and_saveexec_b64 s[78:79], s[18:19]
	s_cbranch_execz .LBB4_664
; %bb.663:                              ;   in Loop: Header=BB4_505 Depth=2
	v_and_b32_e32 v28, 7, v0
	v_lshrrev_b32_e32 v29, 3, v17
	v_cmp_gt_u32_e64 s[18:19], 8, v17
	v_ffbh_u32_e32 v17, v28
	v_min_u32_e32 v30, 32, v17
	v_subrev_u32_e32 v17, 28, v30
	v_lshlrev_b64 v[17:18], v17, v[0:1]
	v_sub_u32_e32 v0, 29, v30
	v_and_b32_e32 v17, 7, v17
	v_cndmask_b32_e64 v0, v29, v0, s[18:19]
	v_cndmask_b32_e64 v17, v28, v17, s[18:19]
	v_lshlrev_b32_sdwa v18, v54, v40 dst_sel:DWORD dst_unused:UNUSED_PAD src0_sel:DWORD src1_sel:BYTE_3
	v_lshlrev_b32_e32 v17, 20, v17
	v_and_b32_e32 v18, 0x80000000, v18
	v_lshl_add_u32 v0, v0, 23, v26
	v_or3_b32 v28, v18, v0, v17
.LBB4_664:                              ;   in Loop: Header=BB4_505 Depth=2
	s_or_b64 exec, exec, s[78:79]
.LBB4_665:                              ;   in Loop: Header=BB4_505 Depth=2
	s_or_b64 exec, exec, s[76:77]
.LBB4_666:                              ;   in Loop: Header=BB4_505 Depth=2
	s_or_b64 exec, exec, s[74:75]
	v_max_f32_e32 v0, v28, v28
	v_max_f32_e32 v17, v27, v27
	;; [unrolled: 1-line block ×3, first 2 shown]
                                        ; implicit-def: $vgpr18
                                        ; implicit-def: $vgpr0
.LBB4_667:                              ;   in Loop: Header=BB4_505 Depth=2
	s_andn2_saveexec_b64 s[18:19], s[72:73]
	s_cbranch_execz .LBB4_681
; %bb.668:                              ;   in Loop: Header=BB4_505 Depth=2
	v_mov_b32_e32 v28, 0
	v_mov_b32_e32 v27, 0
	s_and_saveexec_b64 s[72:73], vcc
	s_cbranch_execz .LBB4_674
; %bb.669:                              ;   in Loop: Header=BB4_505 Depth=2
	v_cmp_ne_u32_e32 vcc, s38, v18
	v_bfrev_b32_e32 v27, 1
	s_and_saveexec_b64 s[74:75], vcc
	s_cbranch_execz .LBB4_673
; %bb.670:                              ;   in Loop: Header=BB4_505 Depth=2
	v_bfe_u32 v17, v17, 24, 7
	v_cmp_ne_u32_e32 vcc, s39, v17
	v_mov_b32_e32 v27, 0x7f800001
	s_and_saveexec_b64 s[76:77], vcc
	s_cbranch_execz .LBB4_672
; %bb.671:                              ;   in Loop: Header=BB4_505 Depth=2
	v_and_b32_e32 v27, 7, v18
	v_lshrrev_b32_e32 v33, 3, v17
	v_cmp_gt_u32_e32 vcc, 8, v17
	v_ffbh_u32_e32 v17, v27
	v_min_u32_e32 v17, 32, v17
	v_subrev_u32_e32 v29, 28, v17
	v_lshlrev_b64 v[29:30], v29, v[18:19]
	v_sub_u32_e32 v17, 29, v17
	v_and_b32_e32 v29, 7, v29
	v_cndmask_b32_e32 v17, v33, v17, vcc
	v_cndmask_b32_e32 v27, v27, v29, vcc
	v_lshlrev_b32_e32 v18, 24, v18
	v_lshlrev_b32_e32 v27, 20, v27
	v_and_b32_e32 v18, 0x80000000, v18
	v_lshl_add_u32 v17, v17, 23, v26
	v_or3_b32 v27, v18, v17, v27
.LBB4_672:                              ;   in Loop: Header=BB4_505 Depth=2
	s_or_b64 exec, exec, s[76:77]
.LBB4_673:                              ;   in Loop: Header=BB4_505 Depth=2
	s_or_b64 exec, exec, s[74:75]
.LBB4_674:                              ;   in Loop: Header=BB4_505 Depth=2
	s_or_b64 exec, exec, s[72:73]
	v_cmp_lt_u32_e32 vcc, s49, v40
	s_and_saveexec_b64 s[72:73], vcc
	s_cbranch_execz .LBB4_680
; %bb.675:                              ;   in Loop: Header=BB4_505 Depth=2
	v_cmp_ne_u32_sdwa s[76:77], v40, s38 src0_sel:BYTE_3 src1_sel:DWORD
	v_bfrev_b32_e32 v28, 1
	s_and_saveexec_b64 s[74:75], s[76:77]
	s_cbranch_execz .LBB4_679
; %bb.676:                              ;   in Loop: Header=BB4_505 Depth=2
	v_bfe_u32 v17, v40, 24, 7
	v_cmp_ne_u32_e32 vcc, s39, v17
	v_mov_b32_e32 v28, 0x7f800001
	s_and_saveexec_b64 s[76:77], vcc
	s_cbranch_execz .LBB4_678
; %bb.677:                              ;   in Loop: Header=BB4_505 Depth=2
	v_and_b32_e32 v28, 7, v0
	v_lshrrev_b32_e32 v29, 3, v17
	v_cmp_gt_u32_e32 vcc, 8, v17
	v_ffbh_u32_e32 v17, v28
	v_min_u32_e32 v30, 32, v17
	v_subrev_u32_e32 v17, 28, v30
	v_lshlrev_b64 v[17:18], v17, v[0:1]
	v_sub_u32_e32 v0, 29, v30
	v_and_b32_e32 v17, 7, v17
	v_cndmask_b32_e32 v0, v29, v0, vcc
	v_cndmask_b32_e32 v17, v28, v17, vcc
	v_lshlrev_b32_sdwa v18, v54, v40 dst_sel:DWORD dst_unused:UNUSED_PAD src0_sel:DWORD src1_sel:BYTE_3
	v_lshlrev_b32_e32 v17, 20, v17
	v_and_b32_e32 v18, 0x80000000, v18
	v_lshl_add_u32 v0, v0, 23, v26
	v_or3_b32 v28, v18, v0, v17
.LBB4_678:                              ;   in Loop: Header=BB4_505 Depth=2
	s_or_b64 exec, exec, s[76:77]
.LBB4_679:                              ;   in Loop: Header=BB4_505 Depth=2
	s_or_b64 exec, exec, s[74:75]
.LBB4_680:                              ;   in Loop: Header=BB4_505 Depth=2
	s_or_b64 exec, exec, s[72:73]
	v_max_f32_e32 v0, v28, v28
	v_max_f32_e32 v17, v27, v27
	v_min_f32_e32 v27, v17, v0
.LBB4_681:                              ;   in Loop: Header=BB4_505 Depth=2
	s_or_b64 exec, exec, s[18:19]
	v_and_b32_e32 v40, 0x7f800000, v27
	v_cmp_ne_u64_e32 vcc, s[56:57], v[40:41]
                                        ; implicit-def: $vgpr29
	s_and_saveexec_b64 s[18:19], vcc
	s_xor_b64 s[72:73], exec, s[18:19]
	s_cbranch_execz .LBB4_695
; %bb.682:                              ;   in Loop: Header=BB4_505 Depth=2
	v_and_b32_e32 v40, 0x7fffffff, v27
	v_cmp_gt_u64_e32 vcc, s[58:59], v[40:41]
	v_and_b32_sdwa v0, v27, s38 dst_sel:DWORD dst_unused:UNUSED_PAD src0_sel:BYTE_3 src1_sel:DWORD
                                        ; implicit-def: $vgpr29
	s_and_saveexec_b64 s[18:19], vcc
	s_xor_b64 s[74:75], exec, s[18:19]
	s_cbranch_execz .LBB4_692
; %bb.683:                              ;   in Loop: Header=BB4_505 Depth=2
	v_mov_b32_e32 v29, 0
	v_cmp_ne_u32_e32 vcc, 0, v27
	s_and_saveexec_b64 s[76:77], vcc
	s_cbranch_execz .LBB4_691
; %bb.684:                              ;   in Loop: Header=BB4_505 Depth=2
	v_bfe_u32 v29, v27, 23, 8
	v_cmp_gt_u32_e64 s[18:19], s48, v29
	v_sub_u32_e32 v18, 0x79, v29
	v_and_b32_e32 v17, 0x7fffff, v27
	v_cmp_eq_u32_e32 vcc, 0, v29
	v_cndmask_b32_e64 v18, 0, v18, s[18:19]
	v_or_b32_e32 v27, 0x800000, v17
	v_cndmask_b32_e32 v30, v18, v7, vcc
	v_cndmask_b32_e32 v40, v27, v17, vcc
	v_add_u32_e32 v17, 20, v30
	v_lshlrev_b64 v[17:18], v17, -1
	v_add_u32_e32 v27, 19, v30
	v_lshlrev_b64 v[27:28], v27, 1
	v_bfi_b32 v18, v18, 0, 0
	v_bfi_b32 v17, v17, 0, v40
	v_cmp_eq_u64_e64 s[18:19], v[17:18], v[27:28]
	v_lshrrev_b64 v[17:18], v30, v[40:41]
	v_mov_b32_e32 v28, v18
	v_mov_b32_e32 v27, v17
	s_and_saveexec_b64 s[78:79], s[18:19]
; %bb.685:                              ;   in Loop: Header=BB4_505 Depth=2
	v_bfe_u32 v18, v17, 20, 1
	v_add_co_u32_e64 v18, s[18:19], v17, v18
	v_add_co_u32_e64 v27, s[18:19], -1, v18
; %bb.686:                              ;   in Loop: Header=BB4_505 Depth=2
	s_or_b64 exec, exec, s[78:79]
	v_add_u32_e32 v18, 0xffffff81, v29
	v_cndmask_b32_e32 v18, v18, v8, vcc
	v_lshrrev_b32_e32 v28, 23, v17
	v_add3_u32 v29, v30, v18, v28
	v_add_u32_e32 v28, 6, v29
	v_and_b32_e32 v18, 0xfffff, v27
	v_add_u32_e32 v40, v18, v17
	v_cmp_ne_u32_e32 vcc, 0, v28
                                        ; implicit-def: $vgpr17_vgpr18
                                        ; implicit-def: $vgpr27
	s_and_saveexec_b64 s[18:19], vcc
	s_xor_b64 s[18:19], exec, s[18:19]
; %bb.687:                              ;   in Loop: Header=BB4_505 Depth=2
	v_cmp_lt_u64_e32 vcc, s[60:61], v[40:41]
	v_add_u32_e32 v17, 7, v29
	v_cndmask_b32_e32 v27, v28, v17, vcc
	v_cndmask_b32_e64 v17, 0, 1, vcc
	v_lshrrev_b64 v[17:18], v17, v[40:41]
; %bb.688:                              ;   in Loop: Header=BB4_505 Depth=2
	s_andn2_saveexec_b64 s[18:19], s[18:19]
; %bb.689:                              ;   in Loop: Header=BB4_505 Depth=2
	v_mov_b32_e32 v17, v40
	v_bfe_u32 v27, v40, 23, 1
	v_mov_b32_e32 v18, v41
; %bb.690:                              ;   in Loop: Header=BB4_505 Depth=2
	s_or_b64 exec, exec, s[18:19]
	v_lshrrev_b64 v[17:18], 20, v[17:18]
	v_cmp_gt_i32_e32 vcc, 16, v27
	v_cndmask_b32_e32 v18, 0, v18, vcc
	v_cndmask_b32_e32 v17, 7, v17, vcc
	v_cmp_eq_u64_e64 s[18:19], 0, v[17:18]
	v_min_i32_e32 v18, 15, v27
	v_lshlrev_b32_e32 v18, 3, v18
	v_cmp_eq_u32_e32 vcc, 0, v27
	v_and_b32_e32 v18, 0xf8, v18
	v_and_or_b32 v17, v17, 7, v18
	s_and_b64 s[18:19], vcc, s[18:19]
	v_cndmask_b32_e64 v17, v17, 0, s[18:19]
	v_or_b32_e32 v29, v17, v0
.LBB4_691:                              ;   in Loop: Header=BB4_505 Depth=2
	s_or_b64 exec, exec, s[76:77]
                                        ; implicit-def: $vgpr0
.LBB4_692:                              ;   in Loop: Header=BB4_505 Depth=2
	s_andn2_saveexec_b64 s[18:19], s[74:75]
; %bb.693:                              ;   in Loop: Header=BB4_505 Depth=2
	v_or_b32_e32 v29, 0x7e, v0
; %bb.694:                              ;   in Loop: Header=BB4_505 Depth=2
	s_or_b64 exec, exec, s[18:19]
                                        ; implicit-def: $vgpr27
.LBB4_695:                              ;   in Loop: Header=BB4_505 Depth=2
	s_andn2_saveexec_b64 s[18:19], s[72:73]
; %bb.696:                              ;   in Loop: Header=BB4_505 Depth=2
	v_or_b32_sdwa v29, v27, s39 dst_sel:DWORD dst_unused:UNUSED_PAD src0_sel:BYTE_3 src1_sel:DWORD
; %bb.697:                              ;   in Loop: Header=BB4_505 Depth=2
	s_or_b64 exec, exec, s[18:19]
	v_alignbit_b32 v40, v25, v31, v20
	v_mov_b32_e32 v20, v41
	v_cmp_ne_u16_sdwa s[18:19], v19, v41 src0_sel:BYTE_0 src1_sel:DWORD
                                        ; implicit-def: $vgpr17
	s_and_saveexec_b64 s[72:73], s[14:15]
	s_xor_b64 s[72:73], exec, s[72:73]
	s_cbranch_execz .LBB4_711
; %bb.698:                              ;   in Loop: Header=BB4_505 Depth=2
	v_mov_b32_e32 v17, 0
	v_mov_b32_e32 v0, 0
	s_and_saveexec_b64 s[74:75], s[18:19]
	s_cbranch_execz .LBB4_704
; %bb.699:                              ;   in Loop: Header=BB4_505 Depth=2
	v_cmp_ne_u16_sdwa s[78:79], v19, s38 src0_sel:BYTE_0 src1_sel:DWORD
	v_bfrev_b32_e32 v0, 1
	s_and_saveexec_b64 s[76:77], s[78:79]
	s_cbranch_execz .LBB4_703
; %bb.700:                              ;   in Loop: Header=BB4_505 Depth=2
	v_and_b32_e32 v18, 0x7f, v19
	v_cmp_ne_u32_e32 vcc, s39, v18
	v_mov_b32_e32 v0, 0x7f800001
	s_and_saveexec_b64 s[78:79], vcc
	s_cbranch_execz .LBB4_702
; %bb.701:                              ;   in Loop: Header=BB4_505 Depth=2
	v_and_b32_e32 v0, 7, v19
	v_ffbh_u32_e32 v0, v0
	v_min_u32_e32 v0, 32, v0
	v_lshrrev_b32_e32 v25, 3, v18
	v_cmp_gt_u32_e32 vcc, 8, v18
	v_subrev_u32_e32 v18, 28, v0
	v_cndmask_b32_e32 v18, 0, v18, vcc
	v_lshlrev_b64 v[27:28], v18, v[19:20]
	v_sub_u32_e32 v0, 29, v0
	v_cndmask_b32_e32 v0, v25, v0, vcc
	v_lshlrev_b32_e32 v18, 20, v27
	v_lshlrev_b32_e32 v20, 24, v19
	v_and_b32_e32 v18, 0x700000, v18
	v_and_b32_e32 v20, 0x80000000, v20
	v_lshl_add_u32 v0, v0, 23, v26
	v_or3_b32 v0, v20, v0, v18
.LBB4_702:                              ;   in Loop: Header=BB4_505 Depth=2
	s_or_b64 exec, exec, s[78:79]
.LBB4_703:                              ;   in Loop: Header=BB4_505 Depth=2
	s_or_b64 exec, exec, s[76:77]
.LBB4_704:                              ;   in Loop: Header=BB4_505 Depth=2
	s_or_b64 exec, exec, s[74:75]
	v_cmp_ne_u16_sdwa s[76:77], v40, v41 src0_sel:BYTE_0 src1_sel:DWORD
	s_and_saveexec_b64 s[74:75], s[76:77]
	s_cbranch_execz .LBB4_710
; %bb.705:                              ;   in Loop: Header=BB4_505 Depth=2
	v_cmp_ne_u16_sdwa s[78:79], v40, s38 src0_sel:BYTE_0 src1_sel:DWORD
	v_bfrev_b32_e32 v17, 1
	s_and_saveexec_b64 s[76:77], s[78:79]
	s_cbranch_execz .LBB4_709
; %bb.706:                              ;   in Loop: Header=BB4_505 Depth=2
	v_and_b32_e32 v18, 0x7f, v40
	v_cmp_ne_u32_e32 vcc, s39, v18
	v_mov_b32_e32 v17, 0x7f800001
	s_and_saveexec_b64 s[78:79], vcc
	s_cbranch_execz .LBB4_708
; %bb.707:                              ;   in Loop: Header=BB4_505 Depth=2
	v_and_b32_e32 v17, 7, v40
	v_ffbh_u32_e32 v17, v17
	v_min_u32_e32 v17, 32, v17
	v_lshrrev_b32_e32 v20, 3, v18
	v_cmp_gt_u32_e32 vcc, 8, v18
	v_subrev_u32_e32 v18, 28, v17
	v_sub_u32_e32 v17, 29, v17
	v_cndmask_b32_e32 v20, v20, v17, vcc
	v_cndmask_b32_e32 v17, 0, v18, vcc
	v_lshlrev_b64 v[17:18], v17, v[40:41]
	v_lshlrev_b32_e32 v18, 24, v40
	v_lshlrev_b32_e32 v17, 20, v17
	v_and_b32_e32 v17, 0x700000, v17
	v_and_b32_e32 v18, 0x80000000, v18
	v_lshl_add_u32 v20, v20, 23, v26
	v_or3_b32 v17, v18, v20, v17
.LBB4_708:                              ;   in Loop: Header=BB4_505 Depth=2
	s_or_b64 exec, exec, s[78:79]
.LBB4_709:                              ;   in Loop: Header=BB4_505 Depth=2
	s_or_b64 exec, exec, s[76:77]
.LBB4_710:                              ;   in Loop: Header=BB4_505 Depth=2
	s_or_b64 exec, exec, s[74:75]
	v_max_f32_e32 v17, v17, v17
	v_max_f32_e32 v0, v0, v0
	;; [unrolled: 1-line block ×3, first 2 shown]
.LBB4_711:                              ;   in Loop: Header=BB4_505 Depth=2
	s_andn2_saveexec_b64 s[72:73], s[72:73]
	s_cbranch_execz .LBB4_725
; %bb.712:                              ;   in Loop: Header=BB4_505 Depth=2
	v_mov_b32_e32 v17, 0
	v_mov_b32_e32 v0, 0
	s_and_saveexec_b64 s[74:75], s[18:19]
	s_cbranch_execz .LBB4_718
; %bb.713:                              ;   in Loop: Header=BB4_505 Depth=2
	v_cmp_ne_u16_sdwa s[76:77], v19, s38 src0_sel:BYTE_0 src1_sel:DWORD
	v_bfrev_b32_e32 v0, 1
	s_and_saveexec_b64 s[18:19], s[76:77]
	s_cbranch_execz .LBB4_717
; %bb.714:                              ;   in Loop: Header=BB4_505 Depth=2
	v_and_b32_e32 v18, 0x7f, v19
	v_cmp_ne_u32_e32 vcc, s39, v18
	v_mov_b32_e32 v0, 0x7f800001
	s_and_saveexec_b64 s[76:77], vcc
	s_cbranch_execz .LBB4_716
; %bb.715:                              ;   in Loop: Header=BB4_505 Depth=2
	v_and_b32_e32 v0, 7, v19
	v_ffbh_u32_e32 v0, v0
	v_min_u32_e32 v0, 32, v0
	v_lshrrev_b32_e32 v25, 3, v18
	v_cmp_gt_u32_e32 vcc, 8, v18
	v_subrev_u32_e32 v18, 28, v0
	v_cndmask_b32_e32 v18, 0, v18, vcc
	v_lshlrev_b64 v[27:28], v18, v[19:20]
	v_sub_u32_e32 v0, 29, v0
	v_cndmask_b32_e32 v0, v25, v0, vcc
	v_lshlrev_b32_e32 v18, 20, v27
	v_lshlrev_b32_e32 v20, 24, v19
	v_and_b32_e32 v18, 0x700000, v18
	v_and_b32_e32 v20, 0x80000000, v20
	v_lshl_add_u32 v0, v0, 23, v26
	v_or3_b32 v0, v20, v0, v18
.LBB4_716:                              ;   in Loop: Header=BB4_505 Depth=2
	s_or_b64 exec, exec, s[76:77]
.LBB4_717:                              ;   in Loop: Header=BB4_505 Depth=2
	s_or_b64 exec, exec, s[18:19]
.LBB4_718:                              ;   in Loop: Header=BB4_505 Depth=2
	s_or_b64 exec, exec, s[74:75]
	v_cmp_ne_u16_sdwa s[74:75], v40, v41 src0_sel:BYTE_0 src1_sel:DWORD
	s_and_saveexec_b64 s[18:19], s[74:75]
	s_cbranch_execz .LBB4_724
; %bb.719:                              ;   in Loop: Header=BB4_505 Depth=2
	v_cmp_ne_u16_sdwa s[76:77], v40, s38 src0_sel:BYTE_0 src1_sel:DWORD
	v_bfrev_b32_e32 v17, 1
	s_and_saveexec_b64 s[74:75], s[76:77]
	s_cbranch_execz .LBB4_723
; %bb.720:                              ;   in Loop: Header=BB4_505 Depth=2
	v_and_b32_e32 v18, 0x7f, v40
	v_cmp_ne_u32_e32 vcc, s39, v18
	v_mov_b32_e32 v17, 0x7f800001
	s_and_saveexec_b64 s[76:77], vcc
	s_cbranch_execz .LBB4_722
; %bb.721:                              ;   in Loop: Header=BB4_505 Depth=2
	v_and_b32_e32 v17, 7, v40
	v_ffbh_u32_e32 v17, v17
	v_min_u32_e32 v17, 32, v17
	v_lshrrev_b32_e32 v20, 3, v18
	v_cmp_gt_u32_e32 vcc, 8, v18
	v_subrev_u32_e32 v18, 28, v17
	v_sub_u32_e32 v17, 29, v17
	v_cndmask_b32_e32 v20, v20, v17, vcc
	v_cndmask_b32_e32 v17, 0, v18, vcc
	v_lshlrev_b64 v[17:18], v17, v[40:41]
	v_lshlrev_b32_e32 v18, 24, v40
	v_lshlrev_b32_e32 v17, 20, v17
	v_and_b32_e32 v17, 0x700000, v17
	v_and_b32_e32 v18, 0x80000000, v18
	v_lshl_add_u32 v20, v20, 23, v26
	v_or3_b32 v17, v18, v20, v17
.LBB4_722:                              ;   in Loop: Header=BB4_505 Depth=2
	s_or_b64 exec, exec, s[76:77]
.LBB4_723:                              ;   in Loop: Header=BB4_505 Depth=2
	s_or_b64 exec, exec, s[74:75]
.LBB4_724:                              ;   in Loop: Header=BB4_505 Depth=2
	s_or_b64 exec, exec, s[18:19]
	v_max_f32_e32 v17, v17, v17
	v_max_f32_e32 v0, v0, v0
	v_min_f32_e32 v17, v0, v17
.LBB4_725:                              ;   in Loop: Header=BB4_505 Depth=2
	s_or_b64 exec, exec, s[72:73]
	v_and_b32_e32 v27, 0x7f800000, v17
	v_mov_b32_e32 v28, v41
	v_cmp_ne_u64_e32 vcc, s[56:57], v[27:28]
                                        ; implicit-def: $vgpr25
	s_and_saveexec_b64 s[18:19], vcc
	s_xor_b64 s[72:73], exec, s[18:19]
	s_cbranch_execz .LBB4_739
; %bb.726:                              ;   in Loop: Header=BB4_505 Depth=2
	v_and_b32_e32 v27, 0x7fffffff, v17
	v_mov_b32_e32 v28, v41
	v_cmp_gt_u64_e32 vcc, s[58:59], v[27:28]
	v_and_b32_sdwa v0, v17, s38 dst_sel:DWORD dst_unused:UNUSED_PAD src0_sel:BYTE_3 src1_sel:DWORD
                                        ; implicit-def: $vgpr25
	s_and_saveexec_b64 s[18:19], vcc
	s_xor_b64 s[74:75], exec, s[18:19]
	s_cbranch_execz .LBB4_736
; %bb.727:                              ;   in Loop: Header=BB4_505 Depth=2
	v_mov_b32_e32 v25, 0
	v_cmp_ne_u32_e32 vcc, 0, v17
	s_and_saveexec_b64 s[76:77], vcc
	s_cbranch_execz .LBB4_735
; %bb.728:                              ;   in Loop: Header=BB4_505 Depth=2
	v_bfe_u32 v20, v17, 23, 8
	v_and_b32_e32 v18, 0x7fffff, v17
	v_cmp_gt_u32_e64 s[18:19], s48, v20
	v_sub_u32_e32 v17, 0x79, v20
	v_cmp_eq_u32_e32 vcc, 0, v20
	v_cndmask_b32_e64 v17, 0, v17, s[18:19]
	v_or_b32_e32 v27, 0x800000, v18
	v_cndmask_b32_e32 v25, v17, v7, vcc
	v_cndmask_b32_e32 v17, v27, v18, vcc
	v_add_u32_e32 v27, 20, v25
	v_lshlrev_b64 v[27:28], v27, -1
	v_mov_b32_e32 v18, v41
	v_add_u32_e32 v30, 19, v25
	v_bfi_b32 v27, v27, 0, v17
	v_lshlrev_b64 v[30:31], v30, 1
	v_lshrrev_b64 v[17:18], v25, v[17:18]
	v_bfi_b32 v28, v28, 0, 0
	v_cmp_eq_u64_e64 s[18:19], v[27:28], v[30:31]
	v_mov_b32_e32 v28, v18
	v_mov_b32_e32 v27, v17
	s_and_saveexec_b64 s[78:79], s[18:19]
; %bb.729:                              ;   in Loop: Header=BB4_505 Depth=2
	v_bfe_u32 v18, v17, 20, 1
	v_add_co_u32_e64 v18, s[18:19], v17, v18
	v_add_co_u32_e64 v27, s[18:19], -1, v18
; %bb.730:                              ;   in Loop: Header=BB4_505 Depth=2
	s_or_b64 exec, exec, s[78:79]
	v_add_u32_e32 v18, 0xffffff81, v20
	v_cndmask_b32_e32 v18, v18, v8, vcc
	v_lshrrev_b32_e32 v20, 23, v17
	v_add3_u32 v28, v25, v18, v20
	v_add_u32_e32 v25, 6, v28
	v_and_b32_e32 v18, 0xfffff, v27
	v_add_u32_e32 v17, v18, v17
	v_mov_b32_e32 v18, v41
	v_cmp_ne_u32_e32 vcc, 0, v25
                                        ; implicit-def: $vgpr20
	s_and_saveexec_b64 s[18:19], vcc
	s_xor_b64 s[18:19], exec, s[18:19]
; %bb.731:                              ;   in Loop: Header=BB4_505 Depth=2
	v_cmp_lt_u64_e32 vcc, s[60:61], v[17:18]
	v_add_u32_e32 v20, 7, v28
	v_cndmask_b32_e32 v20, v25, v20, vcc
	v_cndmask_b32_e64 v25, 0, 1, vcc
	v_lshrrev_b64 v[17:18], v25, v[17:18]
; %bb.732:                              ;   in Loop: Header=BB4_505 Depth=2
	s_andn2_saveexec_b64 s[18:19], s[18:19]
; %bb.733:                              ;   in Loop: Header=BB4_505 Depth=2
	v_bfe_u32 v20, v17, 23, 1
; %bb.734:                              ;   in Loop: Header=BB4_505 Depth=2
	s_or_b64 exec, exec, s[18:19]
	v_lshrrev_b64 v[17:18], 20, v[17:18]
	v_cmp_gt_i32_e32 vcc, 16, v20
	v_cndmask_b32_e32 v18, 0, v18, vcc
	v_cndmask_b32_e32 v17, 7, v17, vcc
	v_cmp_eq_u64_e64 s[18:19], 0, v[17:18]
	v_min_i32_e32 v18, 15, v20
	v_lshlrev_b32_e32 v18, 3, v18
	v_cmp_eq_u32_e32 vcc, 0, v20
	v_and_b32_e32 v18, 0xf8, v18
	v_and_or_b32 v17, v17, 7, v18
	s_and_b64 s[18:19], vcc, s[18:19]
	v_cndmask_b32_e64 v17, v17, 0, s[18:19]
	v_or_b32_e32 v25, v17, v0
.LBB4_735:                              ;   in Loop: Header=BB4_505 Depth=2
	s_or_b64 exec, exec, s[76:77]
                                        ; implicit-def: $vgpr0
.LBB4_736:                              ;   in Loop: Header=BB4_505 Depth=2
	s_andn2_saveexec_b64 s[18:19], s[74:75]
; %bb.737:                              ;   in Loop: Header=BB4_505 Depth=2
	v_or_b32_e32 v25, 0x7e, v0
; %bb.738:                              ;   in Loop: Header=BB4_505 Depth=2
	s_or_b64 exec, exec, s[18:19]
                                        ; implicit-def: $vgpr17
.LBB4_739:                              ;   in Loop: Header=BB4_505 Depth=2
	s_andn2_saveexec_b64 s[18:19], s[72:73]
; %bb.740:                              ;   in Loop: Header=BB4_505 Depth=2
	v_or_b32_sdwa v25, v17, s39 dst_sel:DWORD dst_unused:UNUSED_PAD src0_sel:BYTE_3 src1_sel:DWORD
; %bb.741:                              ;   in Loop: Header=BB4_505 Depth=2
	s_or_b64 exec, exec, s[18:19]
	v_lshrrev_b16_e32 v17, 8, v19
	v_lshrrev_b16_e32 v0, 8, v40
	v_cmp_ne_u16_e32 vcc, 0, v17
                                        ; implicit-def: $vgpr18
	s_and_saveexec_b64 s[18:19], s[14:15]
	s_xor_b64 s[72:73], exec, s[18:19]
	s_cbranch_execz .LBB4_755
; %bb.742:                              ;   in Loop: Header=BB4_505 Depth=2
	v_mov_b32_e32 v20, 0
	v_mov_b32_e32 v18, 0
	s_and_saveexec_b64 s[74:75], vcc
	s_cbranch_execz .LBB4_748
; %bb.743:                              ;   in Loop: Header=BB4_505 Depth=2
	v_cmp_ne_u16_e64 s[18:19], s38, v17
	v_bfrev_b32_e32 v18, 1
	s_and_saveexec_b64 s[76:77], s[18:19]
	s_cbranch_execz .LBB4_747
; %bb.744:                              ;   in Loop: Header=BB4_505 Depth=2
	v_and_b32_e32 v27, 0x7f, v17
	v_cmp_ne_u32_e64 s[18:19], s39, v27
	v_mov_b32_e32 v18, 0x7f800001
	s_and_saveexec_b64 s[78:79], s[18:19]
	s_cbranch_execz .LBB4_746
; %bb.745:                              ;   in Loop: Header=BB4_505 Depth=2
	v_and_b32_e32 v28, 7, v17
	v_ffbh_u32_e32 v18, v28
	v_lshrrev_b32_e32 v30, 3, v27
	v_cmp_gt_u32_e64 s[18:19], 8, v27
	v_min_u32_e32 v27, 32, v18
	v_subrev_u32_e32 v18, 28, v27
	v_lshlrev_b64 v[17:18], v18, v[17:18]
	v_sub_u32_e32 v18, 29, v27
	v_and_b32_e32 v17, 7, v17
	v_cndmask_b32_e64 v18, v30, v18, s[18:19]
	v_cndmask_b32_e64 v17, v28, v17, s[18:19]
	v_lshlrev_b32_e32 v27, 16, v19
	v_lshlrev_b32_e32 v17, 20, v17
	v_and_b32_e32 v27, 0x80000000, v27
	v_lshl_add_u32 v18, v18, 23, v26
	v_or3_b32 v18, v27, v18, v17
.LBB4_746:                              ;   in Loop: Header=BB4_505 Depth=2
	s_or_b64 exec, exec, s[78:79]
.LBB4_747:                              ;   in Loop: Header=BB4_505 Depth=2
	s_or_b64 exec, exec, s[76:77]
.LBB4_748:                              ;   in Loop: Header=BB4_505 Depth=2
	s_or_b64 exec, exec, s[74:75]
	v_cmp_ne_u16_e64 s[18:19], 0, v0
	s_and_saveexec_b64 s[74:75], s[18:19]
	s_cbranch_execz .LBB4_754
; %bb.749:                              ;   in Loop: Header=BB4_505 Depth=2
	v_cmp_ne_u16_e64 s[18:19], s38, v0
	v_bfrev_b32_e32 v20, 1
	s_and_saveexec_b64 s[76:77], s[18:19]
	s_cbranch_execz .LBB4_753
; %bb.750:                              ;   in Loop: Header=BB4_505 Depth=2
	v_and_b32_e32 v17, 0x7f, v0
	v_cmp_ne_u32_e64 s[18:19], s39, v17
	v_mov_b32_e32 v20, 0x7f800001
	s_and_saveexec_b64 s[78:79], s[18:19]
	s_cbranch_execz .LBB4_752
; %bb.751:                              ;   in Loop: Header=BB4_505 Depth=2
	v_and_b32_e32 v20, 7, v0
	v_lshrrev_b32_e32 v30, 3, v17
	v_cmp_gt_u32_e64 s[18:19], 8, v17
	v_ffbh_u32_e32 v17, v20
	v_min_u32_e32 v17, 32, v17
	v_subrev_u32_e32 v27, 28, v17
	v_lshlrev_b64 v[27:28], v27, v[0:1]
	v_sub_u32_e32 v0, 29, v17
	v_and_b32_e32 v17, 7, v27
	v_cndmask_b32_e64 v0, v30, v0, s[18:19]
	v_cndmask_b32_e64 v17, v20, v17, s[18:19]
	v_lshlrev_b32_e32 v20, 16, v40
	v_lshlrev_b32_e32 v17, 20, v17
	v_and_b32_e32 v20, 0x80000000, v20
	v_lshl_add_u32 v0, v0, 23, v26
	v_or3_b32 v20, v20, v0, v17
.LBB4_752:                              ;   in Loop: Header=BB4_505 Depth=2
	s_or_b64 exec, exec, s[78:79]
.LBB4_753:                              ;   in Loop: Header=BB4_505 Depth=2
	s_or_b64 exec, exec, s[76:77]
.LBB4_754:                              ;   in Loop: Header=BB4_505 Depth=2
	s_or_b64 exec, exec, s[74:75]
	v_max_f32_e32 v0, v20, v20
	v_max_f32_e32 v17, v18, v18
	;; [unrolled: 1-line block ×3, first 2 shown]
                                        ; implicit-def: $vgpr0
                                        ; implicit-def: $vgpr17
.LBB4_755:                              ;   in Loop: Header=BB4_505 Depth=2
	s_andn2_saveexec_b64 s[18:19], s[72:73]
	s_cbranch_execz .LBB4_769
; %bb.756:                              ;   in Loop: Header=BB4_505 Depth=2
	v_mov_b32_e32 v20, 0
	v_mov_b32_e32 v18, 0
	s_and_saveexec_b64 s[72:73], vcc
	s_cbranch_execz .LBB4_762
; %bb.757:                              ;   in Loop: Header=BB4_505 Depth=2
	v_cmp_ne_u16_e32 vcc, s38, v17
	v_bfrev_b32_e32 v18, 1
	s_and_saveexec_b64 s[74:75], vcc
	s_cbranch_execz .LBB4_761
; %bb.758:                              ;   in Loop: Header=BB4_505 Depth=2
	v_and_b32_e32 v27, 0x7f, v17
	v_cmp_ne_u32_e32 vcc, s39, v27
	v_mov_b32_e32 v18, 0x7f800001
	s_and_saveexec_b64 s[76:77], vcc
	s_cbranch_execz .LBB4_760
; %bb.759:                              ;   in Loop: Header=BB4_505 Depth=2
	v_and_b32_e32 v28, 7, v17
	v_ffbh_u32_e32 v18, v28
	v_lshrrev_b32_e32 v30, 3, v27
	v_cmp_gt_u32_e32 vcc, 8, v27
	v_min_u32_e32 v27, 32, v18
	v_subrev_u32_e32 v18, 28, v27
	v_lshlrev_b64 v[17:18], v18, v[17:18]
	v_sub_u32_e32 v18, 29, v27
	v_and_b32_e32 v17, 7, v17
	v_cndmask_b32_e32 v18, v30, v18, vcc
	v_cndmask_b32_e32 v17, v28, v17, vcc
	v_lshlrev_b32_e32 v27, 16, v19
	v_lshlrev_b32_e32 v17, 20, v17
	v_and_b32_e32 v27, 0x80000000, v27
	v_lshl_add_u32 v18, v18, 23, v26
	v_or3_b32 v18, v27, v18, v17
.LBB4_760:                              ;   in Loop: Header=BB4_505 Depth=2
	s_or_b64 exec, exec, s[76:77]
.LBB4_761:                              ;   in Loop: Header=BB4_505 Depth=2
	s_or_b64 exec, exec, s[74:75]
.LBB4_762:                              ;   in Loop: Header=BB4_505 Depth=2
	s_or_b64 exec, exec, s[72:73]
	v_cmp_ne_u16_e32 vcc, 0, v0
	s_and_saveexec_b64 s[72:73], vcc
	s_cbranch_execz .LBB4_768
; %bb.763:                              ;   in Loop: Header=BB4_505 Depth=2
	v_cmp_ne_u16_e32 vcc, s38, v0
	v_bfrev_b32_e32 v20, 1
	s_and_saveexec_b64 s[74:75], vcc
	s_cbranch_execz .LBB4_767
; %bb.764:                              ;   in Loop: Header=BB4_505 Depth=2
	v_and_b32_e32 v17, 0x7f, v0
	v_cmp_ne_u32_e32 vcc, s39, v17
	v_mov_b32_e32 v20, 0x7f800001
	s_and_saveexec_b64 s[76:77], vcc
	s_cbranch_execz .LBB4_766
; %bb.765:                              ;   in Loop: Header=BB4_505 Depth=2
	v_and_b32_e32 v20, 7, v0
	v_lshrrev_b32_e32 v30, 3, v17
	v_cmp_gt_u32_e32 vcc, 8, v17
	v_ffbh_u32_e32 v17, v20
	v_min_u32_e32 v17, 32, v17
	v_subrev_u32_e32 v27, 28, v17
	v_lshlrev_b64 v[27:28], v27, v[0:1]
	v_sub_u32_e32 v0, 29, v17
	v_and_b32_e32 v17, 7, v27
	v_cndmask_b32_e32 v0, v30, v0, vcc
	v_cndmask_b32_e32 v17, v20, v17, vcc
	v_lshlrev_b32_e32 v20, 16, v40
	v_lshlrev_b32_e32 v17, 20, v17
	v_and_b32_e32 v20, 0x80000000, v20
	v_lshl_add_u32 v0, v0, 23, v26
	v_or3_b32 v20, v20, v0, v17
.LBB4_766:                              ;   in Loop: Header=BB4_505 Depth=2
	s_or_b64 exec, exec, s[76:77]
.LBB4_767:                              ;   in Loop: Header=BB4_505 Depth=2
	s_or_b64 exec, exec, s[74:75]
.LBB4_768:                              ;   in Loop: Header=BB4_505 Depth=2
	s_or_b64 exec, exec, s[72:73]
	v_max_f32_e32 v0, v20, v20
	v_max_f32_e32 v17, v18, v18
	v_min_f32_e32 v18, v17, v0
.LBB4_769:                              ;   in Loop: Header=BB4_505 Depth=2
	s_or_b64 exec, exec, s[18:19]
	v_and_b32_e32 v27, 0x7f800000, v18
	v_mov_b32_e32 v28, v41
	v_cmp_ne_u64_e32 vcc, s[56:57], v[27:28]
                                        ; implicit-def: $vgpr30
	s_and_saveexec_b64 s[18:19], vcc
	s_xor_b64 s[72:73], exec, s[18:19]
	s_cbranch_execz .LBB4_783
; %bb.770:                              ;   in Loop: Header=BB4_505 Depth=2
	v_and_b32_e32 v27, 0x7fffffff, v18
	v_mov_b32_e32 v28, v41
	v_cmp_gt_u64_e32 vcc, s[58:59], v[27:28]
	v_and_b32_sdwa v0, v18, s38 dst_sel:DWORD dst_unused:UNUSED_PAD src0_sel:BYTE_3 src1_sel:DWORD
                                        ; implicit-def: $vgpr30
	s_and_saveexec_b64 s[18:19], vcc
	s_xor_b64 s[74:75], exec, s[18:19]
	s_cbranch_execz .LBB4_780
; %bb.771:                              ;   in Loop: Header=BB4_505 Depth=2
	v_mov_b32_e32 v30, 0
	v_cmp_ne_u32_e32 vcc, 0, v18
	s_and_saveexec_b64 s[76:77], vcc
	s_cbranch_execz .LBB4_779
; %bb.772:                              ;   in Loop: Header=BB4_505 Depth=2
	v_bfe_u32 v20, v18, 23, 8
	v_and_b32_e32 v17, 0x7fffff, v18
	v_cmp_gt_u32_e64 s[18:19], s48, v20
	v_sub_u32_e32 v18, 0x79, v20
	v_cmp_eq_u32_e32 vcc, 0, v20
	v_cndmask_b32_e64 v18, 0, v18, s[18:19]
	v_or_b32_e32 v27, 0x800000, v17
	v_cndmask_b32_e32 v30, v18, v7, vcc
	v_cndmask_b32_e32 v17, v27, v17, vcc
	v_add_u32_e32 v27, 20, v30
	v_lshlrev_b64 v[27:28], v27, -1
	v_mov_b32_e32 v18, v41
	v_add_u32_e32 v31, 19, v30
	v_bfi_b32 v27, v27, 0, v17
	v_lshlrev_b64 v[44:45], v31, 1
	v_lshrrev_b64 v[17:18], v30, v[17:18]
	v_bfi_b32 v28, v28, 0, 0
	v_cmp_eq_u64_e64 s[18:19], v[27:28], v[44:45]
	v_mov_b32_e32 v28, v18
	v_mov_b32_e32 v27, v17
	s_and_saveexec_b64 s[78:79], s[18:19]
; %bb.773:                              ;   in Loop: Header=BB4_505 Depth=2
	v_bfe_u32 v18, v17, 20, 1
	v_add_co_u32_e64 v18, s[18:19], v17, v18
	v_add_co_u32_e64 v27, s[18:19], -1, v18
; %bb.774:                              ;   in Loop: Header=BB4_505 Depth=2
	s_or_b64 exec, exec, s[78:79]
	v_add_u32_e32 v18, 0xffffff81, v20
	v_cndmask_b32_e32 v18, v18, v8, vcc
	v_lshrrev_b32_e32 v20, 23, v17
	v_add3_u32 v30, v30, v18, v20
	v_add_u32_e32 v28, 6, v30
	v_and_b32_e32 v18, 0xfffff, v27
	v_add_u32_e32 v17, v18, v17
	v_mov_b32_e32 v18, v41
	v_cmp_ne_u32_e32 vcc, 0, v28
                                        ; implicit-def: $vgpr20
	s_and_saveexec_b64 s[18:19], vcc
	s_xor_b64 s[18:19], exec, s[18:19]
; %bb.775:                              ;   in Loop: Header=BB4_505 Depth=2
	v_cmp_lt_u64_e32 vcc, s[60:61], v[17:18]
	v_add_u32_e32 v20, 7, v30
	v_cndmask_b32_e64 v27, 0, 1, vcc
	v_cndmask_b32_e32 v20, v28, v20, vcc
	v_lshrrev_b64 v[17:18], v27, v[17:18]
; %bb.776:                              ;   in Loop: Header=BB4_505 Depth=2
	s_andn2_saveexec_b64 s[18:19], s[18:19]
; %bb.777:                              ;   in Loop: Header=BB4_505 Depth=2
	v_bfe_u32 v20, v17, 23, 1
; %bb.778:                              ;   in Loop: Header=BB4_505 Depth=2
	s_or_b64 exec, exec, s[18:19]
	v_lshrrev_b64 v[17:18], 20, v[17:18]
	v_cmp_gt_i32_e32 vcc, 16, v20
	v_cndmask_b32_e32 v18, 0, v18, vcc
	v_cndmask_b32_e32 v17, 7, v17, vcc
	v_cmp_eq_u64_e64 s[18:19], 0, v[17:18]
	v_min_i32_e32 v18, 15, v20
	v_lshlrev_b32_e32 v18, 3, v18
	v_cmp_eq_u32_e32 vcc, 0, v20
	v_and_b32_e32 v18, 0xf8, v18
	v_and_or_b32 v17, v17, 7, v18
	s_and_b64 s[18:19], vcc, s[18:19]
	v_cndmask_b32_e64 v17, v17, 0, s[18:19]
	v_or_b32_e32 v30, v17, v0
.LBB4_779:                              ;   in Loop: Header=BB4_505 Depth=2
	s_or_b64 exec, exec, s[76:77]
                                        ; implicit-def: $vgpr0
.LBB4_780:                              ;   in Loop: Header=BB4_505 Depth=2
	s_andn2_saveexec_b64 s[18:19], s[74:75]
; %bb.781:                              ;   in Loop: Header=BB4_505 Depth=2
	v_or_b32_e32 v30, 0x7e, v0
; %bb.782:                              ;   in Loop: Header=BB4_505 Depth=2
	s_or_b64 exec, exec, s[18:19]
                                        ; implicit-def: $vgpr18
.LBB4_783:                              ;   in Loop: Header=BB4_505 Depth=2
	s_andn2_saveexec_b64 s[18:19], s[72:73]
; %bb.784:                              ;   in Loop: Header=BB4_505 Depth=2
	v_or_b32_sdwa v30, v18, s39 dst_sel:DWORD dst_unused:UNUSED_PAD src0_sel:BYTE_3 src1_sel:DWORD
; %bb.785:                              ;   in Loop: Header=BB4_505 Depth=2
	s_or_b64 exec, exec, s[18:19]
	v_lshrrev_b32_e32 v17, 16, v19
	v_lshrrev_b32_e32 v0, 16, v40
	v_cmp_ne_u16_sdwa s[18:19], v17, v41 src0_sel:BYTE_0 src1_sel:DWORD
                                        ; implicit-def: $vgpr18
	s_and_saveexec_b64 s[72:73], s[14:15]
	s_xor_b64 s[72:73], exec, s[72:73]
	s_cbranch_execz .LBB4_799
; %bb.786:                              ;   in Loop: Header=BB4_505 Depth=2
	v_mov_b32_e32 v20, 0
	v_mov_b32_e32 v18, 0
	s_and_saveexec_b64 s[74:75], s[18:19]
	s_cbranch_execz .LBB4_792
; %bb.787:                              ;   in Loop: Header=BB4_505 Depth=2
	v_cmp_ne_u16_sdwa s[78:79], v17, s38 src0_sel:BYTE_0 src1_sel:DWORD
	v_bfrev_b32_e32 v18, 1
	s_and_saveexec_b64 s[76:77], s[78:79]
	s_cbranch_execz .LBB4_791
; %bb.788:                              ;   in Loop: Header=BB4_505 Depth=2
	v_bfe_u32 v27, v19, 16, 7
	v_cmp_ne_u32_e32 vcc, s39, v27
	v_mov_b32_e32 v18, 0x7f800001
	s_and_saveexec_b64 s[78:79], vcc
	s_cbranch_execz .LBB4_790
; %bb.789:                              ;   in Loop: Header=BB4_505 Depth=2
	v_and_b32_e32 v18, 7, v17
	v_lshrrev_b32_e32 v31, 3, v27
	v_cmp_gt_u32_e32 vcc, 8, v27
	v_ffbh_u32_e32 v27, v18
	v_min_u32_e32 v33, 32, v27
	v_subrev_u32_e32 v27, 28, v33
	v_lshlrev_b64 v[27:28], v27, v[17:18]
	v_sub_u32_e32 v28, 29, v33
	v_and_b32_e32 v27, 7, v27
	v_cndmask_b32_e32 v28, v31, v28, vcc
	v_cndmask_b32_e32 v18, v18, v27, vcc
	v_lshlrev_b32_e32 v17, 24, v17
	v_lshlrev_b32_e32 v18, 20, v18
	v_and_b32_e32 v17, 0x80000000, v17
	v_lshl_add_u32 v27, v28, 23, v26
	v_or3_b32 v18, v17, v27, v18
.LBB4_790:                              ;   in Loop: Header=BB4_505 Depth=2
	s_or_b64 exec, exec, s[78:79]
.LBB4_791:                              ;   in Loop: Header=BB4_505 Depth=2
	s_or_b64 exec, exec, s[76:77]
.LBB4_792:                              ;   in Loop: Header=BB4_505 Depth=2
	s_or_b64 exec, exec, s[74:75]
	v_and_b32_sdwa v17, v40, s37 dst_sel:DWORD dst_unused:UNUSED_PAD src0_sel:WORD_1 src1_sel:DWORD
	v_cmp_ne_u16_e32 vcc, 0, v17
	s_and_saveexec_b64 s[74:75], vcc
	s_cbranch_execz .LBB4_798
; %bb.793:                              ;   in Loop: Header=BB4_505 Depth=2
	v_cmp_ne_u16_e32 vcc, s38, v17
	v_bfrev_b32_e32 v20, 1
	s_and_saveexec_b64 s[76:77], vcc
	s_cbranch_execz .LBB4_797
; %bb.794:                              ;   in Loop: Header=BB4_505 Depth=2
	v_bfe_u32 v17, v40, 16, 7
	v_cmp_ne_u32_e32 vcc, s39, v17
	v_mov_b32_e32 v20, 0x7f800001
	s_and_saveexec_b64 s[78:79], vcc
	s_cbranch_execz .LBB4_796
; %bb.795:                              ;   in Loop: Header=BB4_505 Depth=2
	v_and_b32_e32 v20, 7, v0
	v_lshrrev_b32_e32 v31, 3, v17
	v_cmp_gt_u32_e32 vcc, 8, v17
	v_ffbh_u32_e32 v17, v20
	v_min_u32_e32 v17, 32, v17
	v_subrev_u32_e32 v27, 28, v17
	v_lshlrev_b64 v[27:28], v27, v[0:1]
	v_sub_u32_e32 v0, 29, v17
	v_and_b32_e32 v17, 7, v27
	v_cndmask_b32_e32 v0, v31, v0, vcc
	v_cndmask_b32_e32 v17, v20, v17, vcc
	v_lshlrev_b32_sdwa v20, v54, v40 dst_sel:DWORD dst_unused:UNUSED_PAD src0_sel:DWORD src1_sel:WORD_1
	v_lshlrev_b32_e32 v17, 20, v17
	v_and_b32_e32 v20, 0x80000000, v20
	v_lshl_add_u32 v0, v0, 23, v26
	v_or3_b32 v20, v20, v0, v17
.LBB4_796:                              ;   in Loop: Header=BB4_505 Depth=2
	s_or_b64 exec, exec, s[78:79]
.LBB4_797:                              ;   in Loop: Header=BB4_505 Depth=2
	s_or_b64 exec, exec, s[76:77]
.LBB4_798:                              ;   in Loop: Header=BB4_505 Depth=2
	s_or_b64 exec, exec, s[74:75]
	v_max_f32_e32 v0, v20, v20
	v_max_f32_e32 v17, v18, v18
	;; [unrolled: 1-line block ×3, first 2 shown]
                                        ; implicit-def: $vgpr17
                                        ; implicit-def: $vgpr0
.LBB4_799:                              ;   in Loop: Header=BB4_505 Depth=2
	s_andn2_saveexec_b64 s[72:73], s[72:73]
	s_cbranch_execz .LBB4_813
; %bb.800:                              ;   in Loop: Header=BB4_505 Depth=2
	v_mov_b32_e32 v20, 0
	v_mov_b32_e32 v18, 0
	s_and_saveexec_b64 s[74:75], s[18:19]
	s_cbranch_execz .LBB4_806
; %bb.801:                              ;   in Loop: Header=BB4_505 Depth=2
	v_cmp_ne_u16_sdwa s[76:77], v17, s38 src0_sel:BYTE_0 src1_sel:DWORD
	v_bfrev_b32_e32 v18, 1
	s_and_saveexec_b64 s[18:19], s[76:77]
	s_cbranch_execz .LBB4_805
; %bb.802:                              ;   in Loop: Header=BB4_505 Depth=2
	v_bfe_u32 v27, v19, 16, 7
	v_cmp_ne_u32_e32 vcc, s39, v27
	v_mov_b32_e32 v18, 0x7f800001
	s_and_saveexec_b64 s[76:77], vcc
	s_cbranch_execz .LBB4_804
; %bb.803:                              ;   in Loop: Header=BB4_505 Depth=2
	v_and_b32_e32 v18, 7, v17
	v_lshrrev_b32_e32 v31, 3, v27
	v_cmp_gt_u32_e32 vcc, 8, v27
	v_ffbh_u32_e32 v27, v18
	v_min_u32_e32 v33, 32, v27
	v_subrev_u32_e32 v27, 28, v33
	v_lshlrev_b64 v[27:28], v27, v[17:18]
	v_sub_u32_e32 v28, 29, v33
	v_and_b32_e32 v27, 7, v27
	v_cndmask_b32_e32 v28, v31, v28, vcc
	v_cndmask_b32_e32 v18, v18, v27, vcc
	v_lshlrev_b32_e32 v17, 24, v17
	v_lshlrev_b32_e32 v18, 20, v18
	v_and_b32_e32 v17, 0x80000000, v17
	v_lshl_add_u32 v27, v28, 23, v26
	v_or3_b32 v18, v17, v27, v18
.LBB4_804:                              ;   in Loop: Header=BB4_505 Depth=2
	s_or_b64 exec, exec, s[76:77]
.LBB4_805:                              ;   in Loop: Header=BB4_505 Depth=2
	s_or_b64 exec, exec, s[18:19]
.LBB4_806:                              ;   in Loop: Header=BB4_505 Depth=2
	s_or_b64 exec, exec, s[74:75]
	v_and_b32_sdwa v17, v40, s37 dst_sel:DWORD dst_unused:UNUSED_PAD src0_sel:WORD_1 src1_sel:DWORD
	v_cmp_ne_u16_e32 vcc, 0, v17
	s_and_saveexec_b64 s[18:19], vcc
	s_cbranch_execz .LBB4_812
; %bb.807:                              ;   in Loop: Header=BB4_505 Depth=2
	v_cmp_ne_u16_e32 vcc, s38, v17
	v_bfrev_b32_e32 v20, 1
	s_and_saveexec_b64 s[74:75], vcc
	s_cbranch_execz .LBB4_811
; %bb.808:                              ;   in Loop: Header=BB4_505 Depth=2
	v_bfe_u32 v17, v40, 16, 7
	v_cmp_ne_u32_e32 vcc, s39, v17
	v_mov_b32_e32 v20, 0x7f800001
	s_and_saveexec_b64 s[76:77], vcc
	s_cbranch_execz .LBB4_810
; %bb.809:                              ;   in Loop: Header=BB4_505 Depth=2
	v_and_b32_e32 v20, 7, v0
	v_lshrrev_b32_e32 v31, 3, v17
	v_cmp_gt_u32_e32 vcc, 8, v17
	v_ffbh_u32_e32 v17, v20
	v_min_u32_e32 v17, 32, v17
	v_subrev_u32_e32 v27, 28, v17
	v_lshlrev_b64 v[27:28], v27, v[0:1]
	v_sub_u32_e32 v0, 29, v17
	v_and_b32_e32 v17, 7, v27
	v_cndmask_b32_e32 v0, v31, v0, vcc
	v_cndmask_b32_e32 v17, v20, v17, vcc
	v_lshlrev_b32_sdwa v20, v54, v40 dst_sel:DWORD dst_unused:UNUSED_PAD src0_sel:DWORD src1_sel:WORD_1
	v_lshlrev_b32_e32 v17, 20, v17
	v_and_b32_e32 v20, 0x80000000, v20
	v_lshl_add_u32 v0, v0, 23, v26
	v_or3_b32 v20, v20, v0, v17
.LBB4_810:                              ;   in Loop: Header=BB4_505 Depth=2
	s_or_b64 exec, exec, s[76:77]
.LBB4_811:                              ;   in Loop: Header=BB4_505 Depth=2
	s_or_b64 exec, exec, s[74:75]
.LBB4_812:                              ;   in Loop: Header=BB4_505 Depth=2
	s_or_b64 exec, exec, s[18:19]
	v_max_f32_e32 v0, v20, v20
	v_max_f32_e32 v17, v18, v18
	v_min_f32_e32 v18, v17, v0
.LBB4_813:                              ;   in Loop: Header=BB4_505 Depth=2
	s_or_b64 exec, exec, s[72:73]
	v_and_b32_e32 v27, 0x7f800000, v18
	v_mov_b32_e32 v28, v41
	v_cmp_ne_u64_e32 vcc, s[56:57], v[27:28]
                                        ; implicit-def: $vgpr27
	s_and_saveexec_b64 s[18:19], vcc
	s_xor_b64 s[72:73], exec, s[18:19]
	s_cbranch_execz .LBB4_827
; %bb.814:                              ;   in Loop: Header=BB4_505 Depth=2
	v_and_b32_e32 v27, 0x7fffffff, v18
	v_mov_b32_e32 v28, v41
	v_cmp_gt_u64_e32 vcc, s[58:59], v[27:28]
	v_and_b32_sdwa v0, v18, s38 dst_sel:DWORD dst_unused:UNUSED_PAD src0_sel:BYTE_3 src1_sel:DWORD
                                        ; implicit-def: $vgpr27
	s_and_saveexec_b64 s[18:19], vcc
	s_xor_b64 s[74:75], exec, s[18:19]
	s_cbranch_execz .LBB4_824
; %bb.815:                              ;   in Loop: Header=BB4_505 Depth=2
	v_mov_b32_e32 v27, 0
	v_cmp_ne_u32_e32 vcc, 0, v18
	s_and_saveexec_b64 s[76:77], vcc
	s_cbranch_execz .LBB4_823
; %bb.816:                              ;   in Loop: Header=BB4_505 Depth=2
	v_bfe_u32 v20, v18, 23, 8
	v_and_b32_e32 v17, 0x7fffff, v18
	v_cmp_gt_u32_e64 s[18:19], s48, v20
	v_sub_u32_e32 v18, 0x79, v20
	v_cmp_eq_u32_e32 vcc, 0, v20
	v_cndmask_b32_e64 v18, 0, v18, s[18:19]
	v_or_b32_e32 v27, 0x800000, v17
	v_cndmask_b32_e32 v31, v18, v7, vcc
	v_cndmask_b32_e32 v17, v27, v17, vcc
	v_add_u32_e32 v27, 20, v31
	v_lshlrev_b64 v[27:28], v27, -1
	v_mov_b32_e32 v18, v41
	v_add_u32_e32 v33, 19, v31
	v_bfi_b32 v27, v27, 0, v17
	v_lshlrev_b64 v[44:45], v33, 1
	v_lshrrev_b64 v[17:18], v31, v[17:18]
	v_bfi_b32 v28, v28, 0, 0
	v_cmp_eq_u64_e64 s[18:19], v[27:28], v[44:45]
	v_mov_b32_e32 v28, v18
	v_mov_b32_e32 v27, v17
	s_and_saveexec_b64 s[78:79], s[18:19]
; %bb.817:                              ;   in Loop: Header=BB4_505 Depth=2
	v_bfe_u32 v18, v17, 20, 1
	v_add_co_u32_e64 v18, s[18:19], v17, v18
	v_add_co_u32_e64 v27, s[18:19], -1, v18
; %bb.818:                              ;   in Loop: Header=BB4_505 Depth=2
	s_or_b64 exec, exec, s[78:79]
	v_add_u32_e32 v18, 0xffffff81, v20
	v_cndmask_b32_e32 v18, v18, v8, vcc
	v_lshrrev_b32_e32 v20, 23, v17
	v_add3_u32 v31, v31, v18, v20
	v_add_u32_e32 v28, 6, v31
	v_and_b32_e32 v18, 0xfffff, v27
	v_add_u32_e32 v17, v18, v17
	v_mov_b32_e32 v18, v41
	v_cmp_ne_u32_e32 vcc, 0, v28
                                        ; implicit-def: $vgpr20
	s_and_saveexec_b64 s[18:19], vcc
	s_xor_b64 s[18:19], exec, s[18:19]
; %bb.819:                              ;   in Loop: Header=BB4_505 Depth=2
	v_cmp_lt_u64_e32 vcc, s[60:61], v[17:18]
	v_add_u32_e32 v20, 7, v31
	v_cndmask_b32_e64 v27, 0, 1, vcc
	v_cndmask_b32_e32 v20, v28, v20, vcc
	v_lshrrev_b64 v[17:18], v27, v[17:18]
; %bb.820:                              ;   in Loop: Header=BB4_505 Depth=2
	s_andn2_saveexec_b64 s[18:19], s[18:19]
; %bb.821:                              ;   in Loop: Header=BB4_505 Depth=2
	v_bfe_u32 v20, v17, 23, 1
; %bb.822:                              ;   in Loop: Header=BB4_505 Depth=2
	s_or_b64 exec, exec, s[18:19]
	v_lshrrev_b64 v[17:18], 20, v[17:18]
	v_cmp_gt_i32_e32 vcc, 16, v20
	v_cndmask_b32_e32 v18, 0, v18, vcc
	v_cndmask_b32_e32 v17, 7, v17, vcc
	v_cmp_eq_u64_e64 s[18:19], 0, v[17:18]
	v_min_i32_e32 v18, 15, v20
	v_lshlrev_b32_e32 v18, 3, v18
	v_cmp_eq_u32_e32 vcc, 0, v20
	v_and_b32_e32 v18, 0xf8, v18
	v_and_or_b32 v17, v17, 7, v18
	s_and_b64 s[18:19], vcc, s[18:19]
	v_cndmask_b32_e64 v17, v17, 0, s[18:19]
	v_or_b32_e32 v27, v17, v0
.LBB4_823:                              ;   in Loop: Header=BB4_505 Depth=2
	s_or_b64 exec, exec, s[76:77]
                                        ; implicit-def: $vgpr0
.LBB4_824:                              ;   in Loop: Header=BB4_505 Depth=2
	s_andn2_saveexec_b64 s[18:19], s[74:75]
; %bb.825:                              ;   in Loop: Header=BB4_505 Depth=2
	v_or_b32_e32 v27, 0x7e, v0
; %bb.826:                              ;   in Loop: Header=BB4_505 Depth=2
	s_or_b64 exec, exec, s[18:19]
                                        ; implicit-def: $vgpr18
.LBB4_827:                              ;   in Loop: Header=BB4_505 Depth=2
	s_andn2_saveexec_b64 s[18:19], s[72:73]
; %bb.828:                              ;   in Loop: Header=BB4_505 Depth=2
	v_or_b32_sdwa v27, v18, s39 dst_sel:DWORD dst_unused:UNUSED_PAD src0_sel:BYTE_3 src1_sel:DWORD
; %bb.829:                              ;   in Loop: Header=BB4_505 Depth=2
	s_or_b64 exec, exec, s[18:19]
	v_and_b32_e32 v44, 0xff000000, v19
	v_mov_b32_e32 v45, v41
	v_cmp_ne_u64_e32 vcc, 0, v[44:45]
	v_lshrrev_b32_e32 v17, 24, v19
	v_lshrrev_b32_e32 v0, 24, v40
                                        ; implicit-def: $vgpr18
	s_and_saveexec_b64 s[18:19], s[14:15]
	s_xor_b64 s[72:73], exec, s[18:19]
	s_cbranch_execz .LBB4_843
; %bb.830:                              ;   in Loop: Header=BB4_505 Depth=2
	v_mov_b32_e32 v20, 0
	v_mov_b32_e32 v18, 0
	s_and_saveexec_b64 s[74:75], vcc
	s_cbranch_execz .LBB4_836
; %bb.831:                              ;   in Loop: Header=BB4_505 Depth=2
	v_cmp_ne_u32_e64 s[18:19], s38, v17
	v_bfrev_b32_e32 v18, 1
	s_and_saveexec_b64 s[76:77], s[18:19]
	s_cbranch_execz .LBB4_835
; %bb.832:                              ;   in Loop: Header=BB4_505 Depth=2
	v_bfe_u32 v19, v19, 24, 7
	v_cmp_ne_u32_e64 s[18:19], s39, v19
	v_mov_b32_e32 v18, 0x7f800001
	s_and_saveexec_b64 s[78:79], s[18:19]
	s_cbranch_execz .LBB4_834
; %bb.833:                              ;   in Loop: Header=BB4_505 Depth=2
	v_and_b32_e32 v28, 7, v17
	v_ffbh_u32_e32 v18, v28
	v_min_u32_e32 v33, 32, v18
	v_subrev_u32_e32 v18, 28, v33
	v_lshrrev_b32_e32 v31, 3, v19
	v_cmp_gt_u32_e64 s[18:19], 8, v19
	v_lshlrev_b64 v[18:19], v18, v[17:18]
	v_sub_u32_e32 v19, 29, v33
	v_and_b32_e32 v18, 7, v18
	v_cndmask_b32_e64 v19, v31, v19, s[18:19]
	v_cndmask_b32_e64 v18, v28, v18, s[18:19]
	v_lshlrev_b32_e32 v17, 24, v17
	v_lshlrev_b32_e32 v18, 20, v18
	v_and_b32_e32 v17, 0x80000000, v17
	v_lshl_add_u32 v19, v19, 23, v26
	v_or3_b32 v18, v17, v19, v18
.LBB4_834:                              ;   in Loop: Header=BB4_505 Depth=2
	s_or_b64 exec, exec, s[78:79]
.LBB4_835:                              ;   in Loop: Header=BB4_505 Depth=2
	s_or_b64 exec, exec, s[76:77]
.LBB4_836:                              ;   in Loop: Header=BB4_505 Depth=2
	s_or_b64 exec, exec, s[74:75]
	v_cmp_lt_u32_e64 s[18:19], s49, v40
	s_and_saveexec_b64 s[74:75], s[18:19]
	s_cbranch_execz .LBB4_842
; %bb.837:                              ;   in Loop: Header=BB4_505 Depth=2
	v_cmp_ne_u32_sdwa s[18:19], v40, s38 src0_sel:BYTE_3 src1_sel:DWORD
	v_bfrev_b32_e32 v20, 1
	s_and_saveexec_b64 s[76:77], s[18:19]
	s_cbranch_execz .LBB4_841
; %bb.838:                              ;   in Loop: Header=BB4_505 Depth=2
	v_bfe_u32 v17, v40, 24, 7
	v_cmp_ne_u32_e64 s[18:19], s39, v17
	v_mov_b32_e32 v20, 0x7f800001
	s_and_saveexec_b64 s[78:79], s[18:19]
	s_cbranch_execz .LBB4_840
; %bb.839:                              ;   in Loop: Header=BB4_505 Depth=2
	v_and_b32_e32 v28, 7, v0
	v_lshrrev_b32_e32 v31, 3, v17
	v_cmp_gt_u32_e64 s[18:19], 8, v17
	v_ffbh_u32_e32 v17, v28
	v_min_u32_e32 v17, 32, v17
	v_subrev_u32_e32 v19, 28, v17
	v_lshlrev_b64 v[19:20], v19, v[0:1]
	v_sub_u32_e32 v0, 29, v17
	v_and_b32_e32 v17, 7, v19
	v_cndmask_b32_e64 v0, v31, v0, s[18:19]
	v_cndmask_b32_e64 v17, v28, v17, s[18:19]
	v_lshlrev_b32_sdwa v19, v54, v40 dst_sel:DWORD dst_unused:UNUSED_PAD src0_sel:DWORD src1_sel:BYTE_3
	v_lshlrev_b32_e32 v17, 20, v17
	v_and_b32_e32 v19, 0x80000000, v19
	v_lshl_add_u32 v0, v0, 23, v26
	v_or3_b32 v20, v19, v0, v17
.LBB4_840:                              ;   in Loop: Header=BB4_505 Depth=2
	s_or_b64 exec, exec, s[78:79]
.LBB4_841:                              ;   in Loop: Header=BB4_505 Depth=2
	s_or_b64 exec, exec, s[76:77]
.LBB4_842:                              ;   in Loop: Header=BB4_505 Depth=2
	s_or_b64 exec, exec, s[74:75]
	v_max_f32_e32 v0, v20, v20
	v_max_f32_e32 v17, v18, v18
	;; [unrolled: 1-line block ×3, first 2 shown]
                                        ; implicit-def: $vgpr17
                                        ; implicit-def: $vgpr0
                                        ; implicit-def: $vgpr19_vgpr20
.LBB4_843:                              ;   in Loop: Header=BB4_505 Depth=2
	s_andn2_saveexec_b64 s[18:19], s[72:73]
	s_cbranch_execz .LBB4_857
; %bb.844:                              ;   in Loop: Header=BB4_505 Depth=2
	v_mov_b32_e32 v20, 0
	v_mov_b32_e32 v18, 0
	s_and_saveexec_b64 s[72:73], vcc
	s_cbranch_execz .LBB4_850
; %bb.845:                              ;   in Loop: Header=BB4_505 Depth=2
	v_cmp_ne_u32_e32 vcc, s38, v17
	v_bfrev_b32_e32 v18, 1
	s_and_saveexec_b64 s[74:75], vcc
	s_cbranch_execz .LBB4_849
; %bb.846:                              ;   in Loop: Header=BB4_505 Depth=2
	v_bfe_u32 v19, v19, 24, 7
	v_cmp_ne_u32_e32 vcc, s39, v19
	v_mov_b32_e32 v18, 0x7f800001
	s_and_saveexec_b64 s[76:77], vcc
	s_cbranch_execz .LBB4_848
; %bb.847:                              ;   in Loop: Header=BB4_505 Depth=2
	v_and_b32_e32 v28, 7, v17
	v_ffbh_u32_e32 v18, v28
	v_min_u32_e32 v33, 32, v18
	v_subrev_u32_e32 v18, 28, v33
	v_lshrrev_b32_e32 v31, 3, v19
	v_cmp_gt_u32_e32 vcc, 8, v19
	v_lshlrev_b64 v[18:19], v18, v[17:18]
	v_sub_u32_e32 v19, 29, v33
	v_and_b32_e32 v18, 7, v18
	v_cndmask_b32_e32 v19, v31, v19, vcc
	v_cndmask_b32_e32 v18, v28, v18, vcc
	v_lshlrev_b32_e32 v17, 24, v17
	v_lshlrev_b32_e32 v18, 20, v18
	v_and_b32_e32 v17, 0x80000000, v17
	v_lshl_add_u32 v19, v19, 23, v26
	v_or3_b32 v18, v17, v19, v18
.LBB4_848:                              ;   in Loop: Header=BB4_505 Depth=2
	s_or_b64 exec, exec, s[76:77]
.LBB4_849:                              ;   in Loop: Header=BB4_505 Depth=2
	s_or_b64 exec, exec, s[74:75]
.LBB4_850:                              ;   in Loop: Header=BB4_505 Depth=2
	s_or_b64 exec, exec, s[72:73]
	v_cmp_lt_u32_e32 vcc, s49, v40
	s_and_saveexec_b64 s[72:73], vcc
	s_cbranch_execz .LBB4_856
; %bb.851:                              ;   in Loop: Header=BB4_505 Depth=2
	v_cmp_ne_u32_sdwa s[76:77], v40, s38 src0_sel:BYTE_3 src1_sel:DWORD
	v_bfrev_b32_e32 v20, 1
	s_and_saveexec_b64 s[74:75], s[76:77]
	s_cbranch_execz .LBB4_855
; %bb.852:                              ;   in Loop: Header=BB4_505 Depth=2
	v_bfe_u32 v17, v40, 24, 7
	v_cmp_ne_u32_e32 vcc, s39, v17
	v_mov_b32_e32 v20, 0x7f800001
	s_and_saveexec_b64 s[76:77], vcc
	s_cbranch_execz .LBB4_854
; %bb.853:                              ;   in Loop: Header=BB4_505 Depth=2
	v_and_b32_e32 v28, 7, v0
	v_lshrrev_b32_e32 v31, 3, v17
	v_cmp_gt_u32_e32 vcc, 8, v17
	v_ffbh_u32_e32 v17, v28
	v_min_u32_e32 v17, 32, v17
	v_subrev_u32_e32 v19, 28, v17
	v_lshlrev_b64 v[19:20], v19, v[0:1]
	v_sub_u32_e32 v0, 29, v17
	v_and_b32_e32 v17, 7, v19
	v_cndmask_b32_e32 v0, v31, v0, vcc
	v_cndmask_b32_e32 v17, v28, v17, vcc
	v_lshlrev_b32_sdwa v19, v54, v40 dst_sel:DWORD dst_unused:UNUSED_PAD src0_sel:DWORD src1_sel:BYTE_3
	v_lshlrev_b32_e32 v17, 20, v17
	v_and_b32_e32 v19, 0x80000000, v19
	v_lshl_add_u32 v0, v0, 23, v26
	v_or3_b32 v20, v19, v0, v17
.LBB4_854:                              ;   in Loop: Header=BB4_505 Depth=2
	s_or_b64 exec, exec, s[76:77]
.LBB4_855:                              ;   in Loop: Header=BB4_505 Depth=2
	s_or_b64 exec, exec, s[74:75]
.LBB4_856:                              ;   in Loop: Header=BB4_505 Depth=2
	s_or_b64 exec, exec, s[72:73]
	v_max_f32_e32 v0, v20, v20
	v_max_f32_e32 v17, v18, v18
	v_min_f32_e32 v18, v17, v0
.LBB4_857:                              ;   in Loop: Header=BB4_505 Depth=2
	s_or_b64 exec, exec, s[18:19]
	v_and_b32_e32 v40, 0x7f800000, v18
	v_cmp_ne_u64_e32 vcc, s[56:57], v[40:41]
                                        ; implicit-def: $vgpr19
	s_and_saveexec_b64 s[18:19], vcc
	s_xor_b64 s[72:73], exec, s[18:19]
	s_cbranch_execz .LBB4_871
; %bb.858:                              ;   in Loop: Header=BB4_505 Depth=2
	v_and_b32_e32 v40, 0x7fffffff, v18
	v_cmp_gt_u64_e32 vcc, s[58:59], v[40:41]
	v_and_b32_sdwa v0, v18, s38 dst_sel:DWORD dst_unused:UNUSED_PAD src0_sel:BYTE_3 src1_sel:DWORD
                                        ; implicit-def: $vgpr19
	s_and_saveexec_b64 s[18:19], vcc
	s_xor_b64 s[74:75], exec, s[18:19]
	s_cbranch_execz .LBB4_868
; %bb.859:                              ;   in Loop: Header=BB4_505 Depth=2
	v_mov_b32_e32 v19, 0
	v_cmp_ne_u32_e32 vcc, 0, v18
	s_and_saveexec_b64 s[76:77], vcc
	s_cbranch_execz .LBB4_867
; %bb.860:                              ;   in Loop: Header=BB4_505 Depth=2
	v_bfe_u32 v20, v18, 23, 8
	v_and_b32_e32 v17, 0x7fffff, v18
	v_cmp_gt_u32_e64 s[18:19], s48, v20
	v_sub_u32_e32 v18, 0x79, v20
	v_cmp_eq_u32_e32 vcc, 0, v20
	v_cndmask_b32_e64 v18, 0, v18, s[18:19]
	v_or_b32_e32 v19, 0x800000, v17
	v_cndmask_b32_e32 v28, v18, v7, vcc
	v_cndmask_b32_e32 v40, v19, v17, vcc
	v_add_u32_e32 v17, 20, v28
	v_lshlrev_b64 v[17:18], v17, -1
	v_add_u32_e32 v19, 19, v28
	v_lshlrev_b64 v[44:45], v19, 1
	v_bfi_b32 v18, v18, 0, 0
	v_bfi_b32 v17, v17, 0, v40
	v_cmp_eq_u64_e64 s[18:19], v[17:18], v[44:45]
	v_lshrrev_b64 v[17:18], v28, v[40:41]
	v_mov_b32_e32 v19, v18
	v_mov_b32_e32 v18, v17
	s_and_saveexec_b64 s[78:79], s[18:19]
; %bb.861:                              ;   in Loop: Header=BB4_505 Depth=2
	v_bfe_u32 v18, v17, 20, 1
	v_add_co_u32_e64 v18, s[18:19], v17, v18
	v_add_co_u32_e64 v18, s[18:19], -1, v18
; %bb.862:                              ;   in Loop: Header=BB4_505 Depth=2
	s_or_b64 exec, exec, s[78:79]
	v_add_u32_e32 v19, 0xffffff81, v20
	v_cndmask_b32_e32 v19, v19, v8, vcc
	v_lshrrev_b32_e32 v20, 23, v17
	v_add3_u32 v28, v28, v19, v20
	v_add_u32_e32 v20, 6, v28
	v_and_b32_e32 v18, 0xfffff, v18
	v_add_u32_e32 v40, v18, v17
	v_cmp_ne_u32_e32 vcc, 0, v20
                                        ; implicit-def: $vgpr17_vgpr18
                                        ; implicit-def: $vgpr19
	s_and_saveexec_b64 s[18:19], vcc
	s_xor_b64 s[18:19], exec, s[18:19]
; %bb.863:                              ;   in Loop: Header=BB4_505 Depth=2
	v_cmp_lt_u64_e32 vcc, s[60:61], v[40:41]
	v_add_u32_e32 v17, 7, v28
	v_cndmask_b32_e32 v19, v20, v17, vcc
	v_cndmask_b32_e64 v17, 0, 1, vcc
	v_lshrrev_b64 v[17:18], v17, v[40:41]
; %bb.864:                              ;   in Loop: Header=BB4_505 Depth=2
	s_andn2_saveexec_b64 s[18:19], s[18:19]
; %bb.865:                              ;   in Loop: Header=BB4_505 Depth=2
	v_mov_b32_e32 v17, v40
	v_bfe_u32 v19, v40, 23, 1
	v_mov_b32_e32 v18, v41
; %bb.866:                              ;   in Loop: Header=BB4_505 Depth=2
	s_or_b64 exec, exec, s[18:19]
	v_lshrrev_b64 v[17:18], 20, v[17:18]
	v_cmp_gt_i32_e32 vcc, 16, v19
	v_cndmask_b32_e32 v18, 0, v18, vcc
	v_cndmask_b32_e32 v17, 7, v17, vcc
	v_cmp_eq_u64_e64 s[18:19], 0, v[17:18]
	v_min_i32_e32 v18, 15, v19
	v_lshlrev_b32_e32 v18, 3, v18
	v_cmp_eq_u32_e32 vcc, 0, v19
	v_and_b32_e32 v18, 0xf8, v18
	v_and_or_b32 v17, v17, 7, v18
	s_and_b64 s[18:19], vcc, s[18:19]
	v_cndmask_b32_e64 v17, v17, 0, s[18:19]
	v_or_b32_e32 v19, v17, v0
.LBB4_867:                              ;   in Loop: Header=BB4_505 Depth=2
	s_or_b64 exec, exec, s[76:77]
                                        ; implicit-def: $vgpr0
.LBB4_868:                              ;   in Loop: Header=BB4_505 Depth=2
	s_andn2_saveexec_b64 s[18:19], s[74:75]
; %bb.869:                              ;   in Loop: Header=BB4_505 Depth=2
	v_or_b32_e32 v19, 0x7e, v0
; %bb.870:                              ;   in Loop: Header=BB4_505 Depth=2
	s_or_b64 exec, exec, s[18:19]
                                        ; implicit-def: $vgpr18
.LBB4_871:                              ;   in Loop: Header=BB4_505 Depth=2
	s_andn2_saveexec_b64 s[18:19], s[72:73]
; %bb.872:                              ;   in Loop: Header=BB4_505 Depth=2
	v_or_b32_sdwa v19, v18, s39 dst_sel:DWORD dst_unused:UNUSED_PAD src0_sel:BYTE_3 src1_sel:DWORD
; %bb.873:                              ;   in Loop: Header=BB4_505 Depth=2
	s_or_b64 exec, exec, s[18:19]
	v_lshlrev_b32_e32 v0, 16, v11
	v_lshlrev_b32_e32 v11, 24, v29
	v_lshl_or_b32 v0, v10, 8, v0
	v_lshlrev_b32_e32 v10, 16, v27
	v_or3_b32 v17, v0, v11, v9
	v_lshlrev_b32_e32 v0, 24, v19
	v_lshl_or_b32 v10, v30, 8, v10
	v_cmp_lt_u32_e32 vcc, 7, v32
	v_or3_b32 v18, v10, v0, v25
	s_cmp_lg_u64 vcc, exec
	s_mov_b64 s[18:19], -1
	s_cbranch_scc0 .LBB4_883
; %bb.874:                              ;   in Loop: Header=BB4_505 Depth=2
	v_cmp_ne_u32_e64 s[18:19], 1, v32
	flat_store_byte v[46:47], v9
	s_and_saveexec_b64 s[72:73], s[18:19]
	s_cbranch_execz .LBB4_885
; %bb.875:                              ;   in Loop: Header=BB4_505 Depth=2
	v_lshrrev_b32_e32 v0, 8, v17
	flat_store_byte v[46:47], v0 offset:1
	s_or_b64 exec, exec, s[72:73]
	v_cmp_lt_u32_e64 s[18:19], 2, v32
	s_and_saveexec_b64 s[72:73], s[18:19]
	s_cbranch_execnz .LBB4_886
.LBB4_876:                              ;   in Loop: Header=BB4_505 Depth=2
	s_or_b64 exec, exec, s[72:73]
	v_cmp_lt_u32_e64 s[18:19], 3, v32
	s_and_saveexec_b64 s[72:73], s[18:19]
	s_cbranch_execz .LBB4_887
.LBB4_877:                              ;   in Loop: Header=BB4_505 Depth=2
	v_lshrrev_b32_e32 v0, 24, v17
	flat_store_byte v[46:47], v0 offset:3
	s_or_b64 exec, exec, s[72:73]
	v_cmp_lt_u32_e64 s[18:19], 4, v32
	s_and_saveexec_b64 s[72:73], s[18:19]
	s_cbranch_execnz .LBB4_888
.LBB4_878:                              ;   in Loop: Header=BB4_505 Depth=2
	s_or_b64 exec, exec, s[72:73]
	v_cmp_lt_u32_e64 s[18:19], 5, v32
	s_and_saveexec_b64 s[72:73], s[18:19]
	s_cbranch_execz .LBB4_889
.LBB4_879:                              ;   in Loop: Header=BB4_505 Depth=2
	v_lshrrev_b32_e32 v0, 8, v18
	flat_store_byte v[46:47], v0 offset:5
	s_or_b64 exec, exec, s[72:73]
	v_cmp_lt_u32_e64 s[18:19], 6, v32
	s_and_saveexec_b64 s[72:73], s[18:19]
	s_cbranch_execnz .LBB4_890
.LBB4_880:                              ;   in Loop: Header=BB4_505 Depth=2
	s_or_b64 exec, exec, s[72:73]
	s_and_saveexec_b64 s[18:19], vcc
	s_cbranch_execz .LBB4_882
.LBB4_881:                              ;   in Loop: Header=BB4_505 Depth=2
	v_lshrrev_b32_e32 v0, 24, v18
	flat_store_byte v[46:47], v0 offset:7
.LBB4_882:                              ;   in Loop: Header=BB4_505 Depth=2
	s_or_b64 exec, exec, s[18:19]
	s_mov_b64 s[18:19], 0
.LBB4_883:                              ;   in Loop: Header=BB4_505 Depth=2
	s_and_b64 vcc, exec, s[18:19]
	s_cbranch_vccz .LBB4_504
; %bb.884:                              ;   in Loop: Header=BB4_505 Depth=2
	global_store_dwordx2 v[46:47], v[17:18], off
	s_branch .LBB4_504
.LBB4_885:                              ;   in Loop: Header=BB4_505 Depth=2
	s_or_b64 exec, exec, s[72:73]
	v_cmp_lt_u32_e64 s[18:19], 2, v32
	s_and_saveexec_b64 s[72:73], s[18:19]
	s_cbranch_execz .LBB4_876
.LBB4_886:                              ;   in Loop: Header=BB4_505 Depth=2
	flat_store_byte_d16_hi v[46:47], v17 offset:2
	s_or_b64 exec, exec, s[72:73]
	v_cmp_lt_u32_e64 s[18:19], 3, v32
	s_and_saveexec_b64 s[72:73], s[18:19]
	s_cbranch_execnz .LBB4_877
.LBB4_887:                              ;   in Loop: Header=BB4_505 Depth=2
	s_or_b64 exec, exec, s[72:73]
	v_cmp_lt_u32_e64 s[18:19], 4, v32
	s_and_saveexec_b64 s[72:73], s[18:19]
	s_cbranch_execz .LBB4_878
.LBB4_888:                              ;   in Loop: Header=BB4_505 Depth=2
	flat_store_byte v[46:47], v25 offset:4
	s_or_b64 exec, exec, s[72:73]
	v_cmp_lt_u32_e64 s[18:19], 5, v32
	s_and_saveexec_b64 s[72:73], s[18:19]
	s_cbranch_execnz .LBB4_879
.LBB4_889:                              ;   in Loop: Header=BB4_505 Depth=2
	s_or_b64 exec, exec, s[72:73]
	v_cmp_lt_u32_e64 s[18:19], 6, v32
	s_and_saveexec_b64 s[72:73], s[18:19]
	s_cbranch_execz .LBB4_880
.LBB4_890:                              ;   in Loop: Header=BB4_505 Depth=2
	flat_store_byte_d16_hi v[46:47], v18 offset:6
	s_or_b64 exec, exec, s[72:73]
	s_and_saveexec_b64 s[18:19], vcc
	s_cbranch_execnz .LBB4_881
	s_branch .LBB4_882
.LBB4_891:                              ;   in Loop: Header=BB4_21 Depth=1
	s_or_b64 exec, exec, s[62:63]
	buffer_load_dword v48, off, s[0:3], s32 offset:152 ; 4-byte Folded Reload
	buffer_load_dword v49, off, s[0:3], s32 offset:156 ; 4-byte Folded Reload
.LBB4_892:                              ;   in Loop: Header=BB4_21 Depth=1
	s_or_b64 exec, exec, s[20:21]
	buffer_load_dword v17, off, s[0:3], s32 offset:136 ; 4-byte Folded Reload
	buffer_load_dword v18, off, s[0:3], s32 offset:140 ; 4-byte Folded Reload
	buffer_load_dword v19, off, s[0:3], s32 offset:144 ; 4-byte Folded Reload
	buffer_load_dword v20, off, s[0:3], s32 offset:148 ; 4-byte Folded Reload
	buffer_load_dword v42, off, s[0:3], s32 offset:108 ; 4-byte Folded Reload
	buffer_load_dword v43, off, s[0:3], s32 offset:112 ; 4-byte Folded Reload
	s_waitcnt vmcnt(0)
	v_mov_b32_e32 v28, v20
	v_mov_b32_e32 v27, v19
	s_and_saveexec_b64 s[18:19], s[10:11]
	s_cbranch_execz .LBB4_911
; %bb.893:                              ;   in Loop: Header=BB4_21 Depth=1
	s_and_saveexec_b64 s[20:21], s[42:43]
	s_xor_b64 s[20:21], exec, s[20:21]
	s_cbranch_execz .LBB4_908
; %bb.894:                              ;   in Loop: Header=BB4_21 Depth=1
	s_and_saveexec_b64 s[62:63], s[12:13]
	s_cbranch_execz .LBB4_907
; %bb.895:                              ;   in Loop: Header=BB4_21 Depth=1
	s_mov_b64 s[74:75], exec
	s_waitcnt lgkmcnt(0)
	v_mbcnt_lo_u32_b32 v0, s74, 0
	v_mbcnt_hi_u32_b32 v0, s75, v0
	v_cmp_eq_u32_e32 vcc, 0, v0
	buffer_wbinvl1_vol
	s_and_saveexec_b64 s[72:73], vcc
	s_cbranch_execz .LBB4_897
; %bb.896:                              ;   in Loop: Header=BB4_21 Depth=1
	s_bcnt1_i32_b64 s28, s[74:75]
	v_mov_b32_e32 v40, s28
	ds_add_u64 v0, v[40:41]
	s_trap 2
.LBB4_897:                              ;   in Loop: Header=BB4_21 Depth=1
	s_or_b64 exec, exec, s[72:73]
	s_trap 2
	ds_read_b64 v[9:10], v0
	s_waitcnt lgkmcnt(0)
	buffer_load_dword v0, off, s[0:3], s32 offset:96 ; 4-byte Folded Reload
	s_waitcnt vmcnt(0)
	v_add_co_u32_e32 v2, vcc, v2, v0
	v_addc_co_u32_e32 v3, vcc, 0, v3, vcc
	v_cmp_lt_u64_e32 vcc, v[9:10], v[2:3]
	s_and_saveexec_b64 s[72:73], vcc
	s_cbranch_execz .LBB4_906
; %bb.898:                              ;   in Loop: Header=BB4_21 Depth=1
	s_mov_b32 s28, 0
	s_mov_b64 s[74:75], 0
                                        ; implicit-def: $sgpr76_sgpr77
                                        ; implicit-def: $sgpr78_sgpr79
	s_branch .LBB4_900
.LBB4_899:                              ;   in Loop: Header=BB4_900 Depth=2
	s_or_b64 exec, exec, s[90:91]
	s_and_b64 s[88:89], exec, s[92:93]
	s_or_b64 s[74:75], s[88:89], s[74:75]
	s_andn2_b64 s[76:77], s[76:77], exec
	s_and_b64 s[88:89], s[78:79], exec
	s_or_b64 s[76:77], s[76:77], s[88:89]
	s_andn2_b64 exec, exec, s[74:75]
	s_cbranch_execz .LBB4_904
.LBB4_900:                              ;   Parent Loop BB4_21 Depth=1
                                        ; =>  This Inner Loop Header: Depth=2
	s_add_i32 s28, s28, 1
	s_cmpk_lg_i32 s28, 0x2710
	s_cselect_b64 s[88:89], -1, 0
	s_and_b64 vcc, exec, s[88:89]
	s_cbranch_vccz .LBB4_902
; %bb.901:                              ;   in Loop: Header=BB4_900 Depth=2
	s_mov_b64 s[92:93], -1
	s_or_b64 s[78:79], s[78:79], exec
	s_and_saveexec_b64 s[90:91], s[88:89]
	s_cbranch_execz .LBB4_899
	s_branch .LBB4_903
.LBB4_902:                              ;   in Loop: Header=BB4_900 Depth=2
	s_trap 2
	ds_read_b64 v[9:10], v0
	s_andn2_b64 s[88:89], s[88:89], exec
	s_mov_b32 s28, 0
	s_waitcnt lgkmcnt(0)
	flat_load_dword v0, v[9:10] glc
	s_waitcnt vmcnt(0) lgkmcnt(0)
	buffer_wbinvl1_vol
	v_cmp_eq_u32_e32 vcc, 0, v0
	s_and_b64 s[90:91], vcc, exec
	s_or_b64 s[88:89], s[88:89], s[90:91]
	s_mov_b64 s[92:93], -1
	s_or_b64 s[78:79], s[78:79], exec
	s_and_saveexec_b64 s[90:91], s[88:89]
	s_cbranch_execz .LBB4_899
.LBB4_903:                              ;   in Loop: Header=BB4_900 Depth=2
	s_sleep 1
	s_trap 2
	ds_read_b64 v[9:10], v0
	s_waitcnt lgkmcnt(0)
	s_andn2_b64 s[78:79], s[78:79], exec
	v_cmp_ge_u64_e32 vcc, v[9:10], v[2:3]
	s_orn2_b64 s[92:93], vcc, exec
	s_branch .LBB4_899
.LBB4_904:                              ;   in Loop: Header=BB4_21 Depth=1
	s_or_b64 exec, exec, s[74:75]
	s_and_saveexec_b64 s[74:75], s[76:77]
	s_xor_b64 s[74:75], exec, s[74:75]
	s_cbranch_execz .LBB4_906
; %bb.905:                              ;   in Loop: Header=BB4_21 Depth=1
	v_mov_b32_e32 v0, 1
	ds_write_b32 v0, v0
	s_trap 2
.LBB4_906:                              ;   in Loop: Header=BB4_21 Depth=1
	s_or_b64 exec, exec, s[72:73]
	;;#ASMSTART
	s_wakeup
	;;#ASMEND
.LBB4_907:                              ;   in Loop: Header=BB4_21 Depth=1
	s_or_b64 exec, exec, s[62:63]
.LBB4_908:                              ;   in Loop: Header=BB4_21 Depth=1
	s_andn2_saveexec_b64 s[20:21], s[20:21]
	s_cbranch_execz .LBB4_910
; %bb.909:                              ;   in Loop: Header=BB4_21 Depth=1
	s_waitcnt lgkmcnt(0)
	buffer_wbinvl1_vol
	s_barrier
.LBB4_910:                              ;   in Loop: Header=BB4_21 Depth=1
	s_or_b64 exec, exec, s[20:21]
.LBB4_911:                              ;   in Loop: Header=BB4_21 Depth=1
	s_or_b64 exec, exec, s[18:19]
	s_and_saveexec_b64 s[18:19], s[16:17]
	s_cbranch_execz .LBB4_20
; %bb.912:                              ;   in Loop: Header=BB4_21 Depth=1
	buffer_load_dword v9, off, s[0:3], s32 offset:68 ; 4-byte Folded Reload
	buffer_load_dword v10, off, s[0:3], s32 offset:72 ; 4-byte Folded Reload
	v_add_co_u32_e32 v38, vcc, 1, v38
	v_addc_co_u32_e32 v39, vcc, 0, v39, vcc
	s_waitcnt vmcnt(0)
	flat_store_dwordx2 v[9:10], v[38:39]
	s_branch .LBB4_20
.LBB4_913:
	s_or_b64 exec, exec, s[40:41]
	buffer_load_dword v31, off, s[0:3], s32 offset:208 ; 4-byte Folded Reload
	buffer_load_dword v11, off, s[0:3], s32 offset:212 ; 4-byte Folded Reload
	;; [unrolled: 1-line block ×6, first 2 shown]
.LBB4_914:
	s_or_b64 exec, exec, s[26:27]
	s_and_saveexec_b64 s[6:7], s[24:25]
	s_cbranch_execz .LBB4_917
; %bb.915:
	s_waitcnt vmcnt(0) lgkmcnt(0)
	flat_store_dwordx2 v[32:33], v[38:39] offset:104
	s_or_b64 exec, exec, s[6:7]
	s_and_saveexec_b64 s[6:7], s[4:5]
	s_cbranch_execnz .LBB4_918
.LBB4_916:
	s_or_b64 exec, exec, s[6:7]
	v_cmp_ne_u32_e32 vcc, 64, v1
	s_and_saveexec_b64 s[4:5], vcc
	s_cbranch_execnz .LBB4_919
	s_branch .LBB4_936
.LBB4_917:
	s_or_b64 exec, exec, s[6:7]
	s_and_saveexec_b64 s[6:7], s[4:5]
	s_cbranch_execz .LBB4_916
.LBB4_918:
	s_waitcnt vmcnt(0) lgkmcnt(0)
	flat_store_dwordx2 v[9:10], v[15:16] offset:104
	s_or_b64 exec, exec, s[6:7]
	v_cmp_ne_u32_e32 vcc, 64, v1
	s_and_saveexec_b64 s[4:5], vcc
	s_cbranch_execz .LBB4_936
.LBB4_919:
	s_waitcnt vmcnt(0)
	v_cmp_ne_u32_sdwa s[6:7], v1, v11 src0_sel:DWORD src1_sel:WORD_0
	s_and_saveexec_b64 s[8:9], s[6:7]
	s_xor_b64 s[6:7], exec, s[8:9]
	s_cbranch_execz .LBB4_934
; %bb.920:
	s_waitcnt lgkmcnt(0)
	v_and_b32_e32 v0, 63, v31
	v_cmp_eq_u32_e32 vcc, 0, v0
	s_and_saveexec_b64 s[8:9], vcc
	s_cbranch_execz .LBB4_933
; %bb.921:
	s_mov_b64 s[12:13], exec
	v_mbcnt_lo_u32_b32 v0, s12, 0
	v_mbcnt_hi_u32_b32 v0, s13, v0
	v_cmp_eq_u32_e32 vcc, 0, v0
	buffer_wbinvl1_vol
	s_and_saveexec_b64 s[10:11], vcc
	s_cbranch_execz .LBB4_923
; %bb.922:
	s_bcnt1_i32_b64 s12, s[12:13]
	v_mov_b32_e32 v4, s12
	v_mov_b32_e32 v5, 0
	ds_add_u64 v0, v[4:5]
	s_trap 2
.LBB4_923:
	s_or_b64 exec, exec, s[10:11]
	v_lshrrev_b32_e32 v0, 6, v1
	s_trap 2
	ds_read_b64 v[4:5], v0
	s_waitcnt lgkmcnt(0)
	v_add_co_u32_e32 v0, vcc, v2, v0
	v_addc_co_u32_e32 v1, vcc, 0, v3, vcc
	v_cmp_lt_u64_e32 vcc, v[4:5], v[0:1]
	s_and_saveexec_b64 s[10:11], vcc
	s_cbranch_execz .LBB4_932
; %bb.924:
	s_mov_b32 s24, 0
	s_mov_b64 s[12:13], 0
                                        ; implicit-def: $sgpr14_sgpr15
                                        ; implicit-def: $sgpr16_sgpr17
	s_branch .LBB4_926
.LBB4_925:                              ;   in Loop: Header=BB4_926 Depth=1
	s_or_b64 exec, exec, s[20:21]
	s_and_b64 s[18:19], exec, s[22:23]
	s_or_b64 s[12:13], s[18:19], s[12:13]
	s_andn2_b64 s[14:15], s[14:15], exec
	s_and_b64 s[18:19], s[16:17], exec
	s_or_b64 s[14:15], s[14:15], s[18:19]
	s_andn2_b64 exec, exec, s[12:13]
	s_cbranch_execz .LBB4_930
.LBB4_926:                              ; =>This Inner Loop Header: Depth=1
	s_add_i32 s24, s24, 1
	s_cmpk_lg_i32 s24, 0x2710
	s_cselect_b64 s[18:19], -1, 0
	s_and_b64 vcc, exec, s[18:19]
	s_cbranch_vccz .LBB4_928
; %bb.927:                              ;   in Loop: Header=BB4_926 Depth=1
	s_mov_b64 s[22:23], -1
	s_or_b64 s[16:17], s[16:17], exec
	s_and_saveexec_b64 s[20:21], s[18:19]
	s_cbranch_execz .LBB4_925
	s_branch .LBB4_929
.LBB4_928:                              ;   in Loop: Header=BB4_926 Depth=1
	s_trap 2
	ds_read_b64 v[2:3], v0
	s_andn2_b64 s[18:19], s[18:19], exec
	s_mov_b32 s24, 0
	s_waitcnt lgkmcnt(0)
	flat_load_dword v2, v[2:3] glc
	s_waitcnt vmcnt(0) lgkmcnt(0)
	buffer_wbinvl1_vol
	v_cmp_eq_u32_e32 vcc, 0, v2
	s_and_b64 s[20:21], vcc, exec
	s_or_b64 s[18:19], s[18:19], s[20:21]
	s_mov_b64 s[22:23], -1
	s_or_b64 s[16:17], s[16:17], exec
	s_and_saveexec_b64 s[20:21], s[18:19]
	s_cbranch_execz .LBB4_925
.LBB4_929:                              ;   in Loop: Header=BB4_926 Depth=1
	s_sleep 1
	s_trap 2
	ds_read_b64 v[2:3], v0
	s_waitcnt lgkmcnt(0)
	s_andn2_b64 s[16:17], s[16:17], exec
	v_cmp_ge_u64_e32 vcc, v[2:3], v[0:1]
	s_orn2_b64 s[22:23], vcc, exec
	s_branch .LBB4_925
.LBB4_930:
	s_or_b64 exec, exec, s[12:13]
	s_and_saveexec_b64 s[12:13], s[14:15]
	s_xor_b64 s[12:13], exec, s[12:13]
	s_cbranch_execz .LBB4_932
; %bb.931:
	v_mov_b32_e32 v0, 1
	ds_write_b32 v0, v0
	s_trap 2
.LBB4_932:
	s_or_b64 exec, exec, s[10:11]
	;;#ASMSTART
	s_wakeup
	;;#ASMEND
.LBB4_933:
	s_or_b64 exec, exec, s[8:9]
.LBB4_934:
	s_andn2_saveexec_b64 s[6:7], s[6:7]
	s_cbranch_execz .LBB4_936
; %bb.935:
	s_waitcnt lgkmcnt(0)
	buffer_wbinvl1_vol
	s_barrier
.LBB4_936:
	s_or_b64 exec, exec, s[4:5]
	buffer_load_dword v62, off, s[0:3], s32 ; 4-byte Folded Reload
	buffer_load_dword v61, off, s[0:3], s32 offset:4 ; 4-byte Folded Reload
	buffer_load_dword v60, off, s[0:3], s32 offset:8 ; 4-byte Folded Reload
	;; [unrolled: 1-line block ×14, first 2 shown]
	v_readlane_b32 s30, v63, 9
	v_readlane_b32 s31, v63, 10
	;; [unrolled: 1-line block ×11, first 2 shown]
	s_or_saveexec_b64 s[4:5], -1
	buffer_load_dword v63, off, s[0:3], s32 offset:232 ; 4-byte Folded Reload
	s_mov_b64 exec, s[4:5]
	s_waitcnt vmcnt(0) lgkmcnt(0)
	s_setpc_b64 s[30:31]
.Lfunc_end4:
	.size	_ZN12_GLOBAL__N_17runRingI14__hip_fp8_e4m310FuncMinMaxIS1_E7ProtoLLLi0ELi4ELi0EEEviiP15ncclDevWorkColl, .Lfunc_end4-_ZN12_GLOBAL__N_17runRingI14__hip_fp8_e4m310FuncMinMaxIS1_E7ProtoLLLi0ELi4ELi0EEEviiP15ncclDevWorkColl
                                        ; -- End function
	.set .L_ZN12_GLOBAL__N_17runRingI14__hip_fp8_e4m310FuncMinMaxIS1_E7ProtoLLLi0ELi4ELi0EEEviiP15ncclDevWorkColl.num_vgpr, 64
	.set .L_ZN12_GLOBAL__N_17runRingI14__hip_fp8_e4m310FuncMinMaxIS1_E7ProtoLLLi0ELi4ELi0EEEviiP15ncclDevWorkColl.num_agpr, 0
	.set .L_ZN12_GLOBAL__N_17runRingI14__hip_fp8_e4m310FuncMinMaxIS1_E7ProtoLLLi0ELi4ELi0EEEviiP15ncclDevWorkColl.numbered_sgpr, 96
	.set .L_ZN12_GLOBAL__N_17runRingI14__hip_fp8_e4m310FuncMinMaxIS1_E7ProtoLLLi0ELi4ELi0EEEviiP15ncclDevWorkColl.num_named_barrier, 0
	.set .L_ZN12_GLOBAL__N_17runRingI14__hip_fp8_e4m310FuncMinMaxIS1_E7ProtoLLLi0ELi4ELi0EEEviiP15ncclDevWorkColl.private_seg_size, 240
	.set .L_ZN12_GLOBAL__N_17runRingI14__hip_fp8_e4m310FuncMinMaxIS1_E7ProtoLLLi0ELi4ELi0EEEviiP15ncclDevWorkColl.uses_vcc, 1
	.set .L_ZN12_GLOBAL__N_17runRingI14__hip_fp8_e4m310FuncMinMaxIS1_E7ProtoLLLi0ELi4ELi0EEEviiP15ncclDevWorkColl.uses_flat_scratch, 0
	.set .L_ZN12_GLOBAL__N_17runRingI14__hip_fp8_e4m310FuncMinMaxIS1_E7ProtoLLLi0ELi4ELi0EEEviiP15ncclDevWorkColl.has_dyn_sized_stack, 0
	.set .L_ZN12_GLOBAL__N_17runRingI14__hip_fp8_e4m310FuncMinMaxIS1_E7ProtoLLLi0ELi4ELi0EEEviiP15ncclDevWorkColl.has_recursion, 0
	.set .L_ZN12_GLOBAL__N_17runRingI14__hip_fp8_e4m310FuncMinMaxIS1_E7ProtoLLLi0ELi4ELi0EEEviiP15ncclDevWorkColl.has_indirect_call, 0
	.section	.AMDGPU.csdata,"",@progbits
; Function info:
; codeLenInByte = 26840
; TotalNumSgprs: 100
; NumVgprs: 64
; ScratchSize: 240
; MemoryBound: 0
	.text
	.p2align	2                               ; -- Begin function _Z53ncclDevFunc_ReduceScatter_RING_LL_MinMax_f8e4m3_0_0_4v
	.type	_Z53ncclDevFunc_ReduceScatter_RING_LL_MinMax_f8e4m3_0_0_4v,@function
_Z53ncclDevFunc_ReduceScatter_RING_LL_MinMax_f8e4m3_0_0_4v: ; @_Z53ncclDevFunc_ReduceScatter_RING_LL_MinMax_f8e4m3_0_0_4v
; %bb.0:
	s_waitcnt vmcnt(0) expcnt(0) lgkmcnt(0)
	s_mov_b32 s4, s33
	s_mov_b32 s33, s32
	s_or_saveexec_b64 s[6:7], -1
	buffer_store_dword v43, off, s[0:3], s33 offset:16 ; 4-byte Folded Spill
	s_mov_b64 exec, s[6:7]
	v_writelane_b32 v43, s4, 17
	s_addk_i32 s32, 0x800
	buffer_store_dword v40, off, s[0:3], s33 offset:12 ; 4-byte Folded Spill
	buffer_store_dword v41, off, s[0:3], s33 offset:8 ; 4-byte Folded Spill
	;; [unrolled: 1-line block ×3, first 2 shown]
	buffer_store_dword v63, off, s[0:3], s33 ; 4-byte Folded Spill
	v_writelane_b32 v43, s34, 0
	v_writelane_b32 v43, s35, 1
	;; [unrolled: 1-line block ×17, first 2 shown]
	s_trap 2
	ds_read_b32 v0, v0
	v_mov_b32_e32 v40, v31
	v_and_b32_e32 v41, 0x3ff, v40
	s_mov_b32 s51, s12
	s_mov_b64 s[52:53], s[8:9]
	s_waitcnt lgkmcnt(0)
	v_cmp_lt_i32_e32 vcc, v41, v0
	s_and_saveexec_b64 s[4:5], vcc
	s_cbranch_execz .LBB5_5
; %bb.1:
	s_load_dword s6, s[52:53], 0x0
	v_mov_b32_e32 v1, 0
	s_mov_b32 s10, 0
	v_mov_b32_e32 v4, v41
                                        ; implicit-def: $vgpr3
	s_waitcnt lgkmcnt(0)
	s_cmp_lt_u32 s51, s6
	s_cselect_b32 s6, 12, 18
	s_add_u32 s6, s52, s6
	s_addc_u32 s7, s53, 0
	global_load_ushort v1, v1, s[6:7]
	s_trap 2
	ds_read_b32 v2, v0
	s_mov_b64 s[6:7], 0
	s_waitcnt vmcnt(0) lgkmcnt(0)
	v_mul_lo_u32 v2, v2, v1
	s_branch .LBB5_3
.LBB5_2:                                ;   in Loop: Header=BB5_3 Depth=1
	s_or_b64 exec, exec, s[8:9]
	v_add_u32_e32 v4, v4, v1
	v_cmp_ge_i32_e32 vcc, v4, v0
	s_or_b64 s[6:7], vcc, s[6:7]
	v_add_u32_e32 v3, v3, v2
	s_andn2_b64 exec, exec, s[6:7]
	s_cbranch_execz .LBB5_5
.LBB5_3:                                ; =>This Inner Loop Header: Depth=1
	ds_read_b32 v5, v3
	s_waitcnt lgkmcnt(0)
	v_and_b32_e32 v5, 0x1000000, v5
	v_cmp_ne_u32_e32 vcc, 0, v5
	s_and_saveexec_b64 s[8:9], vcc
	s_cbranch_execz .LBB5_2
; %bb.4:                                ;   in Loop: Header=BB5_3 Depth=1
	ds_read_b64 v[5:6], v3 offset:104
	s_waitcnt lgkmcnt(0)
	flat_load_ubyte v5, v[5:6]
	v_mov_b32_e32 v6, s10
	s_waitcnt vmcnt(0) lgkmcnt(0)
	v_and_b32_e32 v5, 0xffff, v5
	ds_write_b64 v3, v[5:6] offset:104
	s_branch .LBB5_2
.LBB5_5:
	s_or_b64 exec, exec, s[4:5]
	s_waitcnt vmcnt(0) lgkmcnt(0)
	s_barrier
	s_trap 2
	ds_read_b32 v0, v0
	s_waitcnt lgkmcnt(0)
	v_cmp_gt_i32_e32 vcc, 1, v0
	s_cbranch_vccnz .LBB5_13
; %bb.6:
	s_mov_b32 s64, 0
	v_mov_b32_e32 v42, 6
	s_branch .LBB5_8
.LBB5_7:                                ;   in Loop: Header=BB5_8 Depth=1
	s_or_b64 exec, exec, s[54:55]
	s_trap 2
	ds_read_b32 v0, v0
	s_add_i32 s64, s64, 1
	s_waitcnt lgkmcnt(0)
	v_cmp_lt_i32_e32 vcc, s64, v0
	s_cbranch_vccz .LBB5_13
.LBB5_8:                                ; =>This Inner Loop Header: Depth=1
	s_trap 2
	ds_read_b32 v0, v0
	s_cmp_eq_u32 s64, 0
	s_cbranch_scc1 .LBB5_11
; %bb.9:                                ;   in Loop: Header=BB5_8 Depth=1
	s_trap 2
	s_waitcnt lgkmcnt(0)
	ds_read_b32 v1, v0
	s_waitcnt lgkmcnt(0)
	v_xor_b32_e32 v1, v1, v0
	v_and_b32_e32 v1, 0xff0000, v1
	v_cmp_eq_u32_e32 vcc, 0, v1
	s_cbranch_vccnz .LBB5_11
; %bb.10:                               ;   in Loop: Header=BB5_8 Depth=1
	s_barrier
	ds_read_b32 v0, v0
.LBB5_11:                               ;   in Loop: Header=BB5_8 Depth=1
	s_waitcnt lgkmcnt(0)
	v_lshlrev_b32_sdwa v1, v42, v0 dst_sel:DWORD dst_unused:UNUSED_PAD src0_sel:DWORD src1_sel:BYTE_2
	v_cmp_lt_u32_e32 vcc, v41, v1
	s_and_saveexec_b64 s[54:55], vcc
	s_cbranch_execz .LBB5_7
; %bb.12:                               ;   in Loop: Header=BB5_8 Depth=1
	s_mov_b64 s[4:5], src_shared_base
	s_getpc_b64 s[6:7]
	s_add_u32 s6, s6, _ZN12_GLOBAL__N_17runRingI14__hip_fp8_e4m310FuncMinMaxIS1_E7ProtoLLLi0ELi4ELi0EEEviiP15ncclDevWorkColl@rel32@lo+4
	s_addc_u32 s7, s7, _ZN12_GLOBAL__N_17runRingI14__hip_fp8_e4m310FuncMinMaxIS1_E7ProtoLLLi0ELi4ELi0EEEviiP15ncclDevWorkColl@rel32@hi+12
	s_mov_b64 s[8:9], s[52:53]
	s_mov_b32 s12, s51
	v_mov_b32_e32 v31, v40
	v_mov_b32_e32 v0, v41
	;; [unrolled: 1-line block ×3, first 2 shown]
	s_swappc_b64 s[30:31], s[6:7]
	s_branch .LBB5_7
.LBB5_13:
	buffer_load_dword v63, off, s[0:3], s33 ; 4-byte Folded Reload
	buffer_load_dword v42, off, s[0:3], s33 offset:4 ; 4-byte Folded Reload
	buffer_load_dword v41, off, s[0:3], s33 offset:8 ; 4-byte Folded Reload
	;; [unrolled: 1-line block ×3, first 2 shown]
	v_readlane_b32 s30, v43, 15
	v_readlane_b32 s31, v43, 16
	;; [unrolled: 1-line block ×17, first 2 shown]
	s_mov_b32 s32, s33
	v_readlane_b32 s4, v43, 17
	s_or_saveexec_b64 s[6:7], -1
	buffer_load_dword v43, off, s[0:3], s33 offset:16 ; 4-byte Folded Reload
	s_mov_b64 exec, s[6:7]
	s_mov_b32 s33, s4
	s_waitcnt vmcnt(0)
	s_setpc_b64 s[30:31]
.Lfunc_end5:
	.size	_Z53ncclDevFunc_ReduceScatter_RING_LL_MinMax_f8e4m3_0_0_4v, .Lfunc_end5-_Z53ncclDevFunc_ReduceScatter_RING_LL_MinMax_f8e4m3_0_0_4v
                                        ; -- End function
	.set .L_Z53ncclDevFunc_ReduceScatter_RING_LL_MinMax_f8e4m3_0_0_4v.num_vgpr, max(64, .L_ZN12_GLOBAL__N_17runRingI14__hip_fp8_e4m310FuncMinMaxIS1_E7ProtoLLLi0ELi4ELi0EEEviiP15ncclDevWorkColl.num_vgpr)
	.set .L_Z53ncclDevFunc_ReduceScatter_RING_LL_MinMax_f8e4m3_0_0_4v.num_agpr, max(0, .L_ZN12_GLOBAL__N_17runRingI14__hip_fp8_e4m310FuncMinMaxIS1_E7ProtoLLLi0ELi4ELi0EEEviiP15ncclDevWorkColl.num_agpr)
	.set .L_Z53ncclDevFunc_ReduceScatter_RING_LL_MinMax_f8e4m3_0_0_4v.numbered_sgpr, max(65, .L_ZN12_GLOBAL__N_17runRingI14__hip_fp8_e4m310FuncMinMaxIS1_E7ProtoLLLi0ELi4ELi0EEEviiP15ncclDevWorkColl.numbered_sgpr)
	.set .L_Z53ncclDevFunc_ReduceScatter_RING_LL_MinMax_f8e4m3_0_0_4v.num_named_barrier, max(0, .L_ZN12_GLOBAL__N_17runRingI14__hip_fp8_e4m310FuncMinMaxIS1_E7ProtoLLLi0ELi4ELi0EEEviiP15ncclDevWorkColl.num_named_barrier)
	.set .L_Z53ncclDevFunc_ReduceScatter_RING_LL_MinMax_f8e4m3_0_0_4v.private_seg_size, 32+max(.L_ZN12_GLOBAL__N_17runRingI14__hip_fp8_e4m310FuncMinMaxIS1_E7ProtoLLLi0ELi4ELi0EEEviiP15ncclDevWorkColl.private_seg_size)
	.set .L_Z53ncclDevFunc_ReduceScatter_RING_LL_MinMax_f8e4m3_0_0_4v.uses_vcc, or(1, .L_ZN12_GLOBAL__N_17runRingI14__hip_fp8_e4m310FuncMinMaxIS1_E7ProtoLLLi0ELi4ELi0EEEviiP15ncclDevWorkColl.uses_vcc)
	.set .L_Z53ncclDevFunc_ReduceScatter_RING_LL_MinMax_f8e4m3_0_0_4v.uses_flat_scratch, or(0, .L_ZN12_GLOBAL__N_17runRingI14__hip_fp8_e4m310FuncMinMaxIS1_E7ProtoLLLi0ELi4ELi0EEEviiP15ncclDevWorkColl.uses_flat_scratch)
	.set .L_Z53ncclDevFunc_ReduceScatter_RING_LL_MinMax_f8e4m3_0_0_4v.has_dyn_sized_stack, or(0, .L_ZN12_GLOBAL__N_17runRingI14__hip_fp8_e4m310FuncMinMaxIS1_E7ProtoLLLi0ELi4ELi0EEEviiP15ncclDevWorkColl.has_dyn_sized_stack)
	.set .L_Z53ncclDevFunc_ReduceScatter_RING_LL_MinMax_f8e4m3_0_0_4v.has_recursion, or(1, .L_ZN12_GLOBAL__N_17runRingI14__hip_fp8_e4m310FuncMinMaxIS1_E7ProtoLLLi0ELi4ELi0EEEviiP15ncclDevWorkColl.has_recursion)
	.set .L_Z53ncclDevFunc_ReduceScatter_RING_LL_MinMax_f8e4m3_0_0_4v.has_indirect_call, or(0, .L_ZN12_GLOBAL__N_17runRingI14__hip_fp8_e4m310FuncMinMaxIS1_E7ProtoLLLi0ELi4ELi0EEEviiP15ncclDevWorkColl.has_indirect_call)
	.section	.AMDGPU.csdata,"",@progbits
; Function info:
; codeLenInByte = 880
; TotalNumSgprs: 100
; NumVgprs: 64
; ScratchSize: 272
; MemoryBound: 0
	.section	.AMDGPU.gpr_maximums,"",@progbits
	.set amdgpu.max_num_vgpr, 64
	.set amdgpu.max_num_agpr, 0
	.set amdgpu.max_num_sgpr, 96
	.section	.AMDGPU.csdata,"",@progbits
	.type	__hip_cuid_5260924c136ead9a,@object ; @__hip_cuid_5260924c136ead9a
	.section	.bss,"aw",@nobits
	.globl	__hip_cuid_5260924c136ead9a
__hip_cuid_5260924c136ead9a:
	.byte	0                               ; 0x0
	.size	__hip_cuid_5260924c136ead9a, 1

	.ident	"AMD clang version 22.0.0git (https://github.com/RadeonOpenCompute/llvm-project roc-7.2.4 26084 f58b06dce1f9c15707c5f808fd002e18c2accf7e)"
	.section	".note.GNU-stack","",@progbits
	.addrsig
	.addrsig_sym _Z53ncclDevFunc_ReduceScatter_RING_LL_MinMax_f8e4m3_0_0_1v
	.addrsig_sym _Z53ncclDevFunc_ReduceScatter_RING_LL_MinMax_f8e4m3_0_0_2v
	.addrsig_sym _Z53ncclDevFunc_ReduceScatter_RING_LL_MinMax_f8e4m3_0_0_4v
	.addrsig_sym ncclShmem
	.addrsig_sym __hip_cuid_5260924c136ead9a
	.amdgpu_metadata
---
amdhsa.kernels:  []
amdhsa.target:   amdgcn-amd-amdhsa--gfx906
amdhsa.version:
  - 1
  - 2
...

	.end_amdgpu_metadata
